;; amdgpu-corpus repo=ROCm/rocThrust kind=compiled arch=gfx90a opt=O3
	.text
	.amdgcn_target "amdgcn-amd-amdhsa--gfx90a"
	.amdhsa_code_object_version 6
	.section	.text._ZN6thrust23THRUST_200600_302600_NS11hip_rocprim14__parallel_for6kernelILj256ENS1_20__uninitialized_fill7functorINS0_10device_ptrIfEEfEEmLj1EEEvT0_T1_SA_,"axG",@progbits,_ZN6thrust23THRUST_200600_302600_NS11hip_rocprim14__parallel_for6kernelILj256ENS1_20__uninitialized_fill7functorINS0_10device_ptrIfEEfEEmLj1EEEvT0_T1_SA_,comdat
	.protected	_ZN6thrust23THRUST_200600_302600_NS11hip_rocprim14__parallel_for6kernelILj256ENS1_20__uninitialized_fill7functorINS0_10device_ptrIfEEfEEmLj1EEEvT0_T1_SA_ ; -- Begin function _ZN6thrust23THRUST_200600_302600_NS11hip_rocprim14__parallel_for6kernelILj256ENS1_20__uninitialized_fill7functorINS0_10device_ptrIfEEfEEmLj1EEEvT0_T1_SA_
	.globl	_ZN6thrust23THRUST_200600_302600_NS11hip_rocprim14__parallel_for6kernelILj256ENS1_20__uninitialized_fill7functorINS0_10device_ptrIfEEfEEmLj1EEEvT0_T1_SA_
	.p2align	8
	.type	_ZN6thrust23THRUST_200600_302600_NS11hip_rocprim14__parallel_for6kernelILj256ENS1_20__uninitialized_fill7functorINS0_10device_ptrIfEEfEEmLj1EEEvT0_T1_SA_,@function
_ZN6thrust23THRUST_200600_302600_NS11hip_rocprim14__parallel_for6kernelILj256ENS1_20__uninitialized_fill7functorINS0_10device_ptrIfEEfEEmLj1EEEvT0_T1_SA_: ; @_ZN6thrust23THRUST_200600_302600_NS11hip_rocprim14__parallel_for6kernelILj256ENS1_20__uninitialized_fill7functorINS0_10device_ptrIfEEfEEmLj1EEEvT0_T1_SA_
; %bb.0:
	s_load_dwordx4 s[8:11], s[4:5], 0x10
	s_lshl_b32 s0, s6, 8
	v_mov_b32_e32 v2, 0x100
	v_mov_b32_e32 v3, 0
	s_waitcnt lgkmcnt(0)
	s_add_u32 s0, s0, s10
	s_addc_u32 s1, 0, s11
	s_sub_u32 s2, s8, s0
	s_subb_u32 s3, s9, s1
	v_cmp_lt_u64_e32 vcc, s[2:3], v[2:3]
	s_cbranch_vccz .LBB0_2
; %bb.1:
	v_cmp_gt_u32_e32 vcc, s2, v0
	s_and_b64 s[2:3], vcc, exec
	s_cbranch_execz .LBB0_3
	s_branch .LBB0_4
.LBB0_2:
	s_mov_b64 s[2:3], 0
.LBB0_3:
	s_or_b64 s[2:3], s[2:3], exec
.LBB0_4:
	s_and_saveexec_b64 s[6:7], s[2:3]
	s_cbranch_execnz .LBB0_6
; %bb.5:
	s_endpgm
.LBB0_6:
	s_load_dwordx2 s[2:3], s[4:5], 0x0
	s_load_dword s6, s[4:5], 0x8
	s_lshl_b64 s[0:1], s[0:1], 2
	v_mov_b32_e32 v1, 0
	v_lshlrev_b64 v[0:1], 2, v[0:1]
	s_waitcnt lgkmcnt(0)
	s_add_u32 s0, s2, s0
	s_addc_u32 s1, s3, s1
	v_mov_b32_e32 v2, s1
	v_add_co_u32_e32 v0, vcc, s0, v0
	v_addc_co_u32_e32 v1, vcc, v2, v1, vcc
	v_mov_b32_e32 v2, s6
	flat_store_dword v[0:1], v2
	s_endpgm
	.section	.rodata,"a",@progbits
	.p2align	6, 0x0
	.amdhsa_kernel _ZN6thrust23THRUST_200600_302600_NS11hip_rocprim14__parallel_for6kernelILj256ENS1_20__uninitialized_fill7functorINS0_10device_ptrIfEEfEEmLj1EEEvT0_T1_SA_
		.amdhsa_group_segment_fixed_size 0
		.amdhsa_private_segment_fixed_size 0
		.amdhsa_kernarg_size 32
		.amdhsa_user_sgpr_count 6
		.amdhsa_user_sgpr_private_segment_buffer 1
		.amdhsa_user_sgpr_dispatch_ptr 0
		.amdhsa_user_sgpr_queue_ptr 0
		.amdhsa_user_sgpr_kernarg_segment_ptr 1
		.amdhsa_user_sgpr_dispatch_id 0
		.amdhsa_user_sgpr_flat_scratch_init 0
		.amdhsa_user_sgpr_kernarg_preload_length 0
		.amdhsa_user_sgpr_kernarg_preload_offset 0
		.amdhsa_user_sgpr_private_segment_size 0
		.amdhsa_uses_dynamic_stack 0
		.amdhsa_system_sgpr_private_segment_wavefront_offset 0
		.amdhsa_system_sgpr_workgroup_id_x 1
		.amdhsa_system_sgpr_workgroup_id_y 0
		.amdhsa_system_sgpr_workgroup_id_z 0
		.amdhsa_system_sgpr_workgroup_info 0
		.amdhsa_system_vgpr_workitem_id 0
		.amdhsa_next_free_vgpr 4
		.amdhsa_next_free_sgpr 12
		.amdhsa_accum_offset 4
		.amdhsa_reserve_vcc 1
		.amdhsa_reserve_flat_scratch 0
		.amdhsa_float_round_mode_32 0
		.amdhsa_float_round_mode_16_64 0
		.amdhsa_float_denorm_mode_32 3
		.amdhsa_float_denorm_mode_16_64 3
		.amdhsa_dx10_clamp 1
		.amdhsa_ieee_mode 1
		.amdhsa_fp16_overflow 0
		.amdhsa_tg_split 0
		.amdhsa_exception_fp_ieee_invalid_op 0
		.amdhsa_exception_fp_denorm_src 0
		.amdhsa_exception_fp_ieee_div_zero 0
		.amdhsa_exception_fp_ieee_overflow 0
		.amdhsa_exception_fp_ieee_underflow 0
		.amdhsa_exception_fp_ieee_inexact 0
		.amdhsa_exception_int_div_zero 0
	.end_amdhsa_kernel
	.section	.text._ZN6thrust23THRUST_200600_302600_NS11hip_rocprim14__parallel_for6kernelILj256ENS1_20__uninitialized_fill7functorINS0_10device_ptrIfEEfEEmLj1EEEvT0_T1_SA_,"axG",@progbits,_ZN6thrust23THRUST_200600_302600_NS11hip_rocprim14__parallel_for6kernelILj256ENS1_20__uninitialized_fill7functorINS0_10device_ptrIfEEfEEmLj1EEEvT0_T1_SA_,comdat
.Lfunc_end0:
	.size	_ZN6thrust23THRUST_200600_302600_NS11hip_rocprim14__parallel_for6kernelILj256ENS1_20__uninitialized_fill7functorINS0_10device_ptrIfEEfEEmLj1EEEvT0_T1_SA_, .Lfunc_end0-_ZN6thrust23THRUST_200600_302600_NS11hip_rocprim14__parallel_for6kernelILj256ENS1_20__uninitialized_fill7functorINS0_10device_ptrIfEEfEEmLj1EEEvT0_T1_SA_
                                        ; -- End function
	.section	.AMDGPU.csdata,"",@progbits
; Kernel info:
; codeLenInByte = 160
; NumSgprs: 16
; NumVgprs: 4
; NumAgprs: 0
; TotalNumVgprs: 4
; ScratchSize: 0
; MemoryBound: 0
; FloatMode: 240
; IeeeMode: 1
; LDSByteSize: 0 bytes/workgroup (compile time only)
; SGPRBlocks: 1
; VGPRBlocks: 0
; NumSGPRsForWavesPerEU: 16
; NumVGPRsForWavesPerEU: 4
; AccumOffset: 4
; Occupancy: 8
; WaveLimiterHint : 0
; COMPUTE_PGM_RSRC2:SCRATCH_EN: 0
; COMPUTE_PGM_RSRC2:USER_SGPR: 6
; COMPUTE_PGM_RSRC2:TRAP_HANDLER: 0
; COMPUTE_PGM_RSRC2:TGID_X_EN: 1
; COMPUTE_PGM_RSRC2:TGID_Y_EN: 0
; COMPUTE_PGM_RSRC2:TGID_Z_EN: 0
; COMPUTE_PGM_RSRC2:TIDIG_COMP_CNT: 0
; COMPUTE_PGM_RSRC3_GFX90A:ACCUM_OFFSET: 0
; COMPUTE_PGM_RSRC3_GFX90A:TG_SPLIT: 0
	.section	.text._ZN7rocprim17ROCPRIM_400000_NS6detail17trampoline_kernelINS0_14default_configENS1_22reduce_config_selectorIfEEZNS1_11reduce_implILb1ES3_PfS7_fN6thrust23THRUST_200600_302600_NS7maximumIfEEEE10hipError_tPvRmT1_T2_T3_mT4_P12ihipStream_tbEUlT_E0_NS1_11comp_targetILNS1_3genE0ELNS1_11target_archE4294967295ELNS1_3gpuE0ELNS1_3repE0EEENS1_30default_config_static_selectorELNS0_4arch9wavefront6targetE1EEEvSF_,"axG",@progbits,_ZN7rocprim17ROCPRIM_400000_NS6detail17trampoline_kernelINS0_14default_configENS1_22reduce_config_selectorIfEEZNS1_11reduce_implILb1ES3_PfS7_fN6thrust23THRUST_200600_302600_NS7maximumIfEEEE10hipError_tPvRmT1_T2_T3_mT4_P12ihipStream_tbEUlT_E0_NS1_11comp_targetILNS1_3genE0ELNS1_11target_archE4294967295ELNS1_3gpuE0ELNS1_3repE0EEENS1_30default_config_static_selectorELNS0_4arch9wavefront6targetE1EEEvSF_,comdat
	.protected	_ZN7rocprim17ROCPRIM_400000_NS6detail17trampoline_kernelINS0_14default_configENS1_22reduce_config_selectorIfEEZNS1_11reduce_implILb1ES3_PfS7_fN6thrust23THRUST_200600_302600_NS7maximumIfEEEE10hipError_tPvRmT1_T2_T3_mT4_P12ihipStream_tbEUlT_E0_NS1_11comp_targetILNS1_3genE0ELNS1_11target_archE4294967295ELNS1_3gpuE0ELNS1_3repE0EEENS1_30default_config_static_selectorELNS0_4arch9wavefront6targetE1EEEvSF_ ; -- Begin function _ZN7rocprim17ROCPRIM_400000_NS6detail17trampoline_kernelINS0_14default_configENS1_22reduce_config_selectorIfEEZNS1_11reduce_implILb1ES3_PfS7_fN6thrust23THRUST_200600_302600_NS7maximumIfEEEE10hipError_tPvRmT1_T2_T3_mT4_P12ihipStream_tbEUlT_E0_NS1_11comp_targetILNS1_3genE0ELNS1_11target_archE4294967295ELNS1_3gpuE0ELNS1_3repE0EEENS1_30default_config_static_selectorELNS0_4arch9wavefront6targetE1EEEvSF_
	.globl	_ZN7rocprim17ROCPRIM_400000_NS6detail17trampoline_kernelINS0_14default_configENS1_22reduce_config_selectorIfEEZNS1_11reduce_implILb1ES3_PfS7_fN6thrust23THRUST_200600_302600_NS7maximumIfEEEE10hipError_tPvRmT1_T2_T3_mT4_P12ihipStream_tbEUlT_E0_NS1_11comp_targetILNS1_3genE0ELNS1_11target_archE4294967295ELNS1_3gpuE0ELNS1_3repE0EEENS1_30default_config_static_selectorELNS0_4arch9wavefront6targetE1EEEvSF_
	.p2align	8
	.type	_ZN7rocprim17ROCPRIM_400000_NS6detail17trampoline_kernelINS0_14default_configENS1_22reduce_config_selectorIfEEZNS1_11reduce_implILb1ES3_PfS7_fN6thrust23THRUST_200600_302600_NS7maximumIfEEEE10hipError_tPvRmT1_T2_T3_mT4_P12ihipStream_tbEUlT_E0_NS1_11comp_targetILNS1_3genE0ELNS1_11target_archE4294967295ELNS1_3gpuE0ELNS1_3repE0EEENS1_30default_config_static_selectorELNS0_4arch9wavefront6targetE1EEEvSF_,@function
_ZN7rocprim17ROCPRIM_400000_NS6detail17trampoline_kernelINS0_14default_configENS1_22reduce_config_selectorIfEEZNS1_11reduce_implILb1ES3_PfS7_fN6thrust23THRUST_200600_302600_NS7maximumIfEEEE10hipError_tPvRmT1_T2_T3_mT4_P12ihipStream_tbEUlT_E0_NS1_11comp_targetILNS1_3genE0ELNS1_11target_archE4294967295ELNS1_3gpuE0ELNS1_3repE0EEENS1_30default_config_static_selectorELNS0_4arch9wavefront6targetE1EEEvSF_: ; @_ZN7rocprim17ROCPRIM_400000_NS6detail17trampoline_kernelINS0_14default_configENS1_22reduce_config_selectorIfEEZNS1_11reduce_implILb1ES3_PfS7_fN6thrust23THRUST_200600_302600_NS7maximumIfEEEE10hipError_tPvRmT1_T2_T3_mT4_P12ihipStream_tbEUlT_E0_NS1_11comp_targetILNS1_3genE0ELNS1_11target_archE4294967295ELNS1_3gpuE0ELNS1_3repE0EEENS1_30default_config_static_selectorELNS0_4arch9wavefront6targetE1EEEvSF_
; %bb.0:
	.section	.rodata,"a",@progbits
	.p2align	6, 0x0
	.amdhsa_kernel _ZN7rocprim17ROCPRIM_400000_NS6detail17trampoline_kernelINS0_14default_configENS1_22reduce_config_selectorIfEEZNS1_11reduce_implILb1ES3_PfS7_fN6thrust23THRUST_200600_302600_NS7maximumIfEEEE10hipError_tPvRmT1_T2_T3_mT4_P12ihipStream_tbEUlT_E0_NS1_11comp_targetILNS1_3genE0ELNS1_11target_archE4294967295ELNS1_3gpuE0ELNS1_3repE0EEENS1_30default_config_static_selectorELNS0_4arch9wavefront6targetE1EEEvSF_
		.amdhsa_group_segment_fixed_size 0
		.amdhsa_private_segment_fixed_size 0
		.amdhsa_kernarg_size 56
		.amdhsa_user_sgpr_count 6
		.amdhsa_user_sgpr_private_segment_buffer 1
		.amdhsa_user_sgpr_dispatch_ptr 0
		.amdhsa_user_sgpr_queue_ptr 0
		.amdhsa_user_sgpr_kernarg_segment_ptr 1
		.amdhsa_user_sgpr_dispatch_id 0
		.amdhsa_user_sgpr_flat_scratch_init 0
		.amdhsa_user_sgpr_kernarg_preload_length 0
		.amdhsa_user_sgpr_kernarg_preload_offset 0
		.amdhsa_user_sgpr_private_segment_size 0
		.amdhsa_uses_dynamic_stack 0
		.amdhsa_system_sgpr_private_segment_wavefront_offset 0
		.amdhsa_system_sgpr_workgroup_id_x 1
		.amdhsa_system_sgpr_workgroup_id_y 0
		.amdhsa_system_sgpr_workgroup_id_z 0
		.amdhsa_system_sgpr_workgroup_info 0
		.amdhsa_system_vgpr_workitem_id 0
		.amdhsa_next_free_vgpr 1
		.amdhsa_next_free_sgpr 0
		.amdhsa_accum_offset 4
		.amdhsa_reserve_vcc 0
		.amdhsa_reserve_flat_scratch 0
		.amdhsa_float_round_mode_32 0
		.amdhsa_float_round_mode_16_64 0
		.amdhsa_float_denorm_mode_32 3
		.amdhsa_float_denorm_mode_16_64 3
		.amdhsa_dx10_clamp 1
		.amdhsa_ieee_mode 1
		.amdhsa_fp16_overflow 0
		.amdhsa_tg_split 0
		.amdhsa_exception_fp_ieee_invalid_op 0
		.amdhsa_exception_fp_denorm_src 0
		.amdhsa_exception_fp_ieee_div_zero 0
		.amdhsa_exception_fp_ieee_overflow 0
		.amdhsa_exception_fp_ieee_underflow 0
		.amdhsa_exception_fp_ieee_inexact 0
		.amdhsa_exception_int_div_zero 0
	.end_amdhsa_kernel
	.section	.text._ZN7rocprim17ROCPRIM_400000_NS6detail17trampoline_kernelINS0_14default_configENS1_22reduce_config_selectorIfEEZNS1_11reduce_implILb1ES3_PfS7_fN6thrust23THRUST_200600_302600_NS7maximumIfEEEE10hipError_tPvRmT1_T2_T3_mT4_P12ihipStream_tbEUlT_E0_NS1_11comp_targetILNS1_3genE0ELNS1_11target_archE4294967295ELNS1_3gpuE0ELNS1_3repE0EEENS1_30default_config_static_selectorELNS0_4arch9wavefront6targetE1EEEvSF_,"axG",@progbits,_ZN7rocprim17ROCPRIM_400000_NS6detail17trampoline_kernelINS0_14default_configENS1_22reduce_config_selectorIfEEZNS1_11reduce_implILb1ES3_PfS7_fN6thrust23THRUST_200600_302600_NS7maximumIfEEEE10hipError_tPvRmT1_T2_T3_mT4_P12ihipStream_tbEUlT_E0_NS1_11comp_targetILNS1_3genE0ELNS1_11target_archE4294967295ELNS1_3gpuE0ELNS1_3repE0EEENS1_30default_config_static_selectorELNS0_4arch9wavefront6targetE1EEEvSF_,comdat
.Lfunc_end1:
	.size	_ZN7rocprim17ROCPRIM_400000_NS6detail17trampoline_kernelINS0_14default_configENS1_22reduce_config_selectorIfEEZNS1_11reduce_implILb1ES3_PfS7_fN6thrust23THRUST_200600_302600_NS7maximumIfEEEE10hipError_tPvRmT1_T2_T3_mT4_P12ihipStream_tbEUlT_E0_NS1_11comp_targetILNS1_3genE0ELNS1_11target_archE4294967295ELNS1_3gpuE0ELNS1_3repE0EEENS1_30default_config_static_selectorELNS0_4arch9wavefront6targetE1EEEvSF_, .Lfunc_end1-_ZN7rocprim17ROCPRIM_400000_NS6detail17trampoline_kernelINS0_14default_configENS1_22reduce_config_selectorIfEEZNS1_11reduce_implILb1ES3_PfS7_fN6thrust23THRUST_200600_302600_NS7maximumIfEEEE10hipError_tPvRmT1_T2_T3_mT4_P12ihipStream_tbEUlT_E0_NS1_11comp_targetILNS1_3genE0ELNS1_11target_archE4294967295ELNS1_3gpuE0ELNS1_3repE0EEENS1_30default_config_static_selectorELNS0_4arch9wavefront6targetE1EEEvSF_
                                        ; -- End function
	.section	.AMDGPU.csdata,"",@progbits
; Kernel info:
; codeLenInByte = 0
; NumSgprs: 4
; NumVgprs: 0
; NumAgprs: 0
; TotalNumVgprs: 0
; ScratchSize: 0
; MemoryBound: 0
; FloatMode: 240
; IeeeMode: 1
; LDSByteSize: 0 bytes/workgroup (compile time only)
; SGPRBlocks: 0
; VGPRBlocks: 0
; NumSGPRsForWavesPerEU: 4
; NumVGPRsForWavesPerEU: 1
; AccumOffset: 4
; Occupancy: 8
; WaveLimiterHint : 0
; COMPUTE_PGM_RSRC2:SCRATCH_EN: 0
; COMPUTE_PGM_RSRC2:USER_SGPR: 6
; COMPUTE_PGM_RSRC2:TRAP_HANDLER: 0
; COMPUTE_PGM_RSRC2:TGID_X_EN: 1
; COMPUTE_PGM_RSRC2:TGID_Y_EN: 0
; COMPUTE_PGM_RSRC2:TGID_Z_EN: 0
; COMPUTE_PGM_RSRC2:TIDIG_COMP_CNT: 0
; COMPUTE_PGM_RSRC3_GFX90A:ACCUM_OFFSET: 0
; COMPUTE_PGM_RSRC3_GFX90A:TG_SPLIT: 0
	.section	.text._ZN7rocprim17ROCPRIM_400000_NS6detail17trampoline_kernelINS0_14default_configENS1_22reduce_config_selectorIfEEZNS1_11reduce_implILb1ES3_PfS7_fN6thrust23THRUST_200600_302600_NS7maximumIfEEEE10hipError_tPvRmT1_T2_T3_mT4_P12ihipStream_tbEUlT_E0_NS1_11comp_targetILNS1_3genE5ELNS1_11target_archE942ELNS1_3gpuE9ELNS1_3repE0EEENS1_30default_config_static_selectorELNS0_4arch9wavefront6targetE1EEEvSF_,"axG",@progbits,_ZN7rocprim17ROCPRIM_400000_NS6detail17trampoline_kernelINS0_14default_configENS1_22reduce_config_selectorIfEEZNS1_11reduce_implILb1ES3_PfS7_fN6thrust23THRUST_200600_302600_NS7maximumIfEEEE10hipError_tPvRmT1_T2_T3_mT4_P12ihipStream_tbEUlT_E0_NS1_11comp_targetILNS1_3genE5ELNS1_11target_archE942ELNS1_3gpuE9ELNS1_3repE0EEENS1_30default_config_static_selectorELNS0_4arch9wavefront6targetE1EEEvSF_,comdat
	.protected	_ZN7rocprim17ROCPRIM_400000_NS6detail17trampoline_kernelINS0_14default_configENS1_22reduce_config_selectorIfEEZNS1_11reduce_implILb1ES3_PfS7_fN6thrust23THRUST_200600_302600_NS7maximumIfEEEE10hipError_tPvRmT1_T2_T3_mT4_P12ihipStream_tbEUlT_E0_NS1_11comp_targetILNS1_3genE5ELNS1_11target_archE942ELNS1_3gpuE9ELNS1_3repE0EEENS1_30default_config_static_selectorELNS0_4arch9wavefront6targetE1EEEvSF_ ; -- Begin function _ZN7rocprim17ROCPRIM_400000_NS6detail17trampoline_kernelINS0_14default_configENS1_22reduce_config_selectorIfEEZNS1_11reduce_implILb1ES3_PfS7_fN6thrust23THRUST_200600_302600_NS7maximumIfEEEE10hipError_tPvRmT1_T2_T3_mT4_P12ihipStream_tbEUlT_E0_NS1_11comp_targetILNS1_3genE5ELNS1_11target_archE942ELNS1_3gpuE9ELNS1_3repE0EEENS1_30default_config_static_selectorELNS0_4arch9wavefront6targetE1EEEvSF_
	.globl	_ZN7rocprim17ROCPRIM_400000_NS6detail17trampoline_kernelINS0_14default_configENS1_22reduce_config_selectorIfEEZNS1_11reduce_implILb1ES3_PfS7_fN6thrust23THRUST_200600_302600_NS7maximumIfEEEE10hipError_tPvRmT1_T2_T3_mT4_P12ihipStream_tbEUlT_E0_NS1_11comp_targetILNS1_3genE5ELNS1_11target_archE942ELNS1_3gpuE9ELNS1_3repE0EEENS1_30default_config_static_selectorELNS0_4arch9wavefront6targetE1EEEvSF_
	.p2align	8
	.type	_ZN7rocprim17ROCPRIM_400000_NS6detail17trampoline_kernelINS0_14default_configENS1_22reduce_config_selectorIfEEZNS1_11reduce_implILb1ES3_PfS7_fN6thrust23THRUST_200600_302600_NS7maximumIfEEEE10hipError_tPvRmT1_T2_T3_mT4_P12ihipStream_tbEUlT_E0_NS1_11comp_targetILNS1_3genE5ELNS1_11target_archE942ELNS1_3gpuE9ELNS1_3repE0EEENS1_30default_config_static_selectorELNS0_4arch9wavefront6targetE1EEEvSF_,@function
_ZN7rocprim17ROCPRIM_400000_NS6detail17trampoline_kernelINS0_14default_configENS1_22reduce_config_selectorIfEEZNS1_11reduce_implILb1ES3_PfS7_fN6thrust23THRUST_200600_302600_NS7maximumIfEEEE10hipError_tPvRmT1_T2_T3_mT4_P12ihipStream_tbEUlT_E0_NS1_11comp_targetILNS1_3genE5ELNS1_11target_archE942ELNS1_3gpuE9ELNS1_3repE0EEENS1_30default_config_static_selectorELNS0_4arch9wavefront6targetE1EEEvSF_: ; @_ZN7rocprim17ROCPRIM_400000_NS6detail17trampoline_kernelINS0_14default_configENS1_22reduce_config_selectorIfEEZNS1_11reduce_implILb1ES3_PfS7_fN6thrust23THRUST_200600_302600_NS7maximumIfEEEE10hipError_tPvRmT1_T2_T3_mT4_P12ihipStream_tbEUlT_E0_NS1_11comp_targetILNS1_3genE5ELNS1_11target_archE942ELNS1_3gpuE9ELNS1_3repE0EEENS1_30default_config_static_selectorELNS0_4arch9wavefront6targetE1EEEvSF_
; %bb.0:
	.section	.rodata,"a",@progbits
	.p2align	6, 0x0
	.amdhsa_kernel _ZN7rocprim17ROCPRIM_400000_NS6detail17trampoline_kernelINS0_14default_configENS1_22reduce_config_selectorIfEEZNS1_11reduce_implILb1ES3_PfS7_fN6thrust23THRUST_200600_302600_NS7maximumIfEEEE10hipError_tPvRmT1_T2_T3_mT4_P12ihipStream_tbEUlT_E0_NS1_11comp_targetILNS1_3genE5ELNS1_11target_archE942ELNS1_3gpuE9ELNS1_3repE0EEENS1_30default_config_static_selectorELNS0_4arch9wavefront6targetE1EEEvSF_
		.amdhsa_group_segment_fixed_size 0
		.amdhsa_private_segment_fixed_size 0
		.amdhsa_kernarg_size 56
		.amdhsa_user_sgpr_count 6
		.amdhsa_user_sgpr_private_segment_buffer 1
		.amdhsa_user_sgpr_dispatch_ptr 0
		.amdhsa_user_sgpr_queue_ptr 0
		.amdhsa_user_sgpr_kernarg_segment_ptr 1
		.amdhsa_user_sgpr_dispatch_id 0
		.amdhsa_user_sgpr_flat_scratch_init 0
		.amdhsa_user_sgpr_kernarg_preload_length 0
		.amdhsa_user_sgpr_kernarg_preload_offset 0
		.amdhsa_user_sgpr_private_segment_size 0
		.amdhsa_uses_dynamic_stack 0
		.amdhsa_system_sgpr_private_segment_wavefront_offset 0
		.amdhsa_system_sgpr_workgroup_id_x 1
		.amdhsa_system_sgpr_workgroup_id_y 0
		.amdhsa_system_sgpr_workgroup_id_z 0
		.amdhsa_system_sgpr_workgroup_info 0
		.amdhsa_system_vgpr_workitem_id 0
		.amdhsa_next_free_vgpr 1
		.amdhsa_next_free_sgpr 0
		.amdhsa_accum_offset 4
		.amdhsa_reserve_vcc 0
		.amdhsa_reserve_flat_scratch 0
		.amdhsa_float_round_mode_32 0
		.amdhsa_float_round_mode_16_64 0
		.amdhsa_float_denorm_mode_32 3
		.amdhsa_float_denorm_mode_16_64 3
		.amdhsa_dx10_clamp 1
		.amdhsa_ieee_mode 1
		.amdhsa_fp16_overflow 0
		.amdhsa_tg_split 0
		.amdhsa_exception_fp_ieee_invalid_op 0
		.amdhsa_exception_fp_denorm_src 0
		.amdhsa_exception_fp_ieee_div_zero 0
		.amdhsa_exception_fp_ieee_overflow 0
		.amdhsa_exception_fp_ieee_underflow 0
		.amdhsa_exception_fp_ieee_inexact 0
		.amdhsa_exception_int_div_zero 0
	.end_amdhsa_kernel
	.section	.text._ZN7rocprim17ROCPRIM_400000_NS6detail17trampoline_kernelINS0_14default_configENS1_22reduce_config_selectorIfEEZNS1_11reduce_implILb1ES3_PfS7_fN6thrust23THRUST_200600_302600_NS7maximumIfEEEE10hipError_tPvRmT1_T2_T3_mT4_P12ihipStream_tbEUlT_E0_NS1_11comp_targetILNS1_3genE5ELNS1_11target_archE942ELNS1_3gpuE9ELNS1_3repE0EEENS1_30default_config_static_selectorELNS0_4arch9wavefront6targetE1EEEvSF_,"axG",@progbits,_ZN7rocprim17ROCPRIM_400000_NS6detail17trampoline_kernelINS0_14default_configENS1_22reduce_config_selectorIfEEZNS1_11reduce_implILb1ES3_PfS7_fN6thrust23THRUST_200600_302600_NS7maximumIfEEEE10hipError_tPvRmT1_T2_T3_mT4_P12ihipStream_tbEUlT_E0_NS1_11comp_targetILNS1_3genE5ELNS1_11target_archE942ELNS1_3gpuE9ELNS1_3repE0EEENS1_30default_config_static_selectorELNS0_4arch9wavefront6targetE1EEEvSF_,comdat
.Lfunc_end2:
	.size	_ZN7rocprim17ROCPRIM_400000_NS6detail17trampoline_kernelINS0_14default_configENS1_22reduce_config_selectorIfEEZNS1_11reduce_implILb1ES3_PfS7_fN6thrust23THRUST_200600_302600_NS7maximumIfEEEE10hipError_tPvRmT1_T2_T3_mT4_P12ihipStream_tbEUlT_E0_NS1_11comp_targetILNS1_3genE5ELNS1_11target_archE942ELNS1_3gpuE9ELNS1_3repE0EEENS1_30default_config_static_selectorELNS0_4arch9wavefront6targetE1EEEvSF_, .Lfunc_end2-_ZN7rocprim17ROCPRIM_400000_NS6detail17trampoline_kernelINS0_14default_configENS1_22reduce_config_selectorIfEEZNS1_11reduce_implILb1ES3_PfS7_fN6thrust23THRUST_200600_302600_NS7maximumIfEEEE10hipError_tPvRmT1_T2_T3_mT4_P12ihipStream_tbEUlT_E0_NS1_11comp_targetILNS1_3genE5ELNS1_11target_archE942ELNS1_3gpuE9ELNS1_3repE0EEENS1_30default_config_static_selectorELNS0_4arch9wavefront6targetE1EEEvSF_
                                        ; -- End function
	.section	.AMDGPU.csdata,"",@progbits
; Kernel info:
; codeLenInByte = 0
; NumSgprs: 4
; NumVgprs: 0
; NumAgprs: 0
; TotalNumVgprs: 0
; ScratchSize: 0
; MemoryBound: 0
; FloatMode: 240
; IeeeMode: 1
; LDSByteSize: 0 bytes/workgroup (compile time only)
; SGPRBlocks: 0
; VGPRBlocks: 0
; NumSGPRsForWavesPerEU: 4
; NumVGPRsForWavesPerEU: 1
; AccumOffset: 4
; Occupancy: 8
; WaveLimiterHint : 0
; COMPUTE_PGM_RSRC2:SCRATCH_EN: 0
; COMPUTE_PGM_RSRC2:USER_SGPR: 6
; COMPUTE_PGM_RSRC2:TRAP_HANDLER: 0
; COMPUTE_PGM_RSRC2:TGID_X_EN: 1
; COMPUTE_PGM_RSRC2:TGID_Y_EN: 0
; COMPUTE_PGM_RSRC2:TGID_Z_EN: 0
; COMPUTE_PGM_RSRC2:TIDIG_COMP_CNT: 0
; COMPUTE_PGM_RSRC3_GFX90A:ACCUM_OFFSET: 0
; COMPUTE_PGM_RSRC3_GFX90A:TG_SPLIT: 0
	.section	.text._ZN7rocprim17ROCPRIM_400000_NS6detail17trampoline_kernelINS0_14default_configENS1_22reduce_config_selectorIfEEZNS1_11reduce_implILb1ES3_PfS7_fN6thrust23THRUST_200600_302600_NS7maximumIfEEEE10hipError_tPvRmT1_T2_T3_mT4_P12ihipStream_tbEUlT_E0_NS1_11comp_targetILNS1_3genE4ELNS1_11target_archE910ELNS1_3gpuE8ELNS1_3repE0EEENS1_30default_config_static_selectorELNS0_4arch9wavefront6targetE1EEEvSF_,"axG",@progbits,_ZN7rocprim17ROCPRIM_400000_NS6detail17trampoline_kernelINS0_14default_configENS1_22reduce_config_selectorIfEEZNS1_11reduce_implILb1ES3_PfS7_fN6thrust23THRUST_200600_302600_NS7maximumIfEEEE10hipError_tPvRmT1_T2_T3_mT4_P12ihipStream_tbEUlT_E0_NS1_11comp_targetILNS1_3genE4ELNS1_11target_archE910ELNS1_3gpuE8ELNS1_3repE0EEENS1_30default_config_static_selectorELNS0_4arch9wavefront6targetE1EEEvSF_,comdat
	.protected	_ZN7rocprim17ROCPRIM_400000_NS6detail17trampoline_kernelINS0_14default_configENS1_22reduce_config_selectorIfEEZNS1_11reduce_implILb1ES3_PfS7_fN6thrust23THRUST_200600_302600_NS7maximumIfEEEE10hipError_tPvRmT1_T2_T3_mT4_P12ihipStream_tbEUlT_E0_NS1_11comp_targetILNS1_3genE4ELNS1_11target_archE910ELNS1_3gpuE8ELNS1_3repE0EEENS1_30default_config_static_selectorELNS0_4arch9wavefront6targetE1EEEvSF_ ; -- Begin function _ZN7rocprim17ROCPRIM_400000_NS6detail17trampoline_kernelINS0_14default_configENS1_22reduce_config_selectorIfEEZNS1_11reduce_implILb1ES3_PfS7_fN6thrust23THRUST_200600_302600_NS7maximumIfEEEE10hipError_tPvRmT1_T2_T3_mT4_P12ihipStream_tbEUlT_E0_NS1_11comp_targetILNS1_3genE4ELNS1_11target_archE910ELNS1_3gpuE8ELNS1_3repE0EEENS1_30default_config_static_selectorELNS0_4arch9wavefront6targetE1EEEvSF_
	.globl	_ZN7rocprim17ROCPRIM_400000_NS6detail17trampoline_kernelINS0_14default_configENS1_22reduce_config_selectorIfEEZNS1_11reduce_implILb1ES3_PfS7_fN6thrust23THRUST_200600_302600_NS7maximumIfEEEE10hipError_tPvRmT1_T2_T3_mT4_P12ihipStream_tbEUlT_E0_NS1_11comp_targetILNS1_3genE4ELNS1_11target_archE910ELNS1_3gpuE8ELNS1_3repE0EEENS1_30default_config_static_selectorELNS0_4arch9wavefront6targetE1EEEvSF_
	.p2align	8
	.type	_ZN7rocprim17ROCPRIM_400000_NS6detail17trampoline_kernelINS0_14default_configENS1_22reduce_config_selectorIfEEZNS1_11reduce_implILb1ES3_PfS7_fN6thrust23THRUST_200600_302600_NS7maximumIfEEEE10hipError_tPvRmT1_T2_T3_mT4_P12ihipStream_tbEUlT_E0_NS1_11comp_targetILNS1_3genE4ELNS1_11target_archE910ELNS1_3gpuE8ELNS1_3repE0EEENS1_30default_config_static_selectorELNS0_4arch9wavefront6targetE1EEEvSF_,@function
_ZN7rocprim17ROCPRIM_400000_NS6detail17trampoline_kernelINS0_14default_configENS1_22reduce_config_selectorIfEEZNS1_11reduce_implILb1ES3_PfS7_fN6thrust23THRUST_200600_302600_NS7maximumIfEEEE10hipError_tPvRmT1_T2_T3_mT4_P12ihipStream_tbEUlT_E0_NS1_11comp_targetILNS1_3genE4ELNS1_11target_archE910ELNS1_3gpuE8ELNS1_3repE0EEENS1_30default_config_static_selectorELNS0_4arch9wavefront6targetE1EEEvSF_: ; @_ZN7rocprim17ROCPRIM_400000_NS6detail17trampoline_kernelINS0_14default_configENS1_22reduce_config_selectorIfEEZNS1_11reduce_implILb1ES3_PfS7_fN6thrust23THRUST_200600_302600_NS7maximumIfEEEE10hipError_tPvRmT1_T2_T3_mT4_P12ihipStream_tbEUlT_E0_NS1_11comp_targetILNS1_3genE4ELNS1_11target_archE910ELNS1_3gpuE8ELNS1_3repE0EEENS1_30default_config_static_selectorELNS0_4arch9wavefront6targetE1EEEvSF_
; %bb.0:
	s_load_dwordx8 s[12:19], s[4:5], 0x0
	s_load_dwordx4 s[20:23], s[4:5], 0x20
	v_lshlrev_b32_e32 v10, 2, v0
	v_mbcnt_lo_u32_b32 v1, -1, 0
	s_waitcnt lgkmcnt(0)
	s_lshl_b64 s[0:1], s[14:15], 2
	s_add_u32 s10, s12, s0
	s_addc_u32 s11, s13, s1
	s_lshl_b32 s0, s6, 10
	s_mov_b32 s1, 0
	s_lshr_b64 s[2:3], s[16:17], 10
	s_lshl_b64 s[8:9], s[0:1], 2
	s_add_u32 s14, s10, s8
	s_mov_b32 s7, s1
	s_addc_u32 s15, s11, s9
	s_cmp_lg_u64 s[2:3], s[6:7]
	s_cbranch_scc0 .LBB3_6
; %bb.1:
	global_load_dword v2, v10, s[14:15]
	global_load_dword v5, v10, s[14:15] offset:512
	global_load_dword v6, v10, s[14:15] offset:1024
	;; [unrolled: 1-line block ×7, first 2 shown]
	v_mbcnt_hi_u32_b32 v3, -1, v1
	v_lshlrev_b32_e32 v4, 2, v3
	s_waitcnt vmcnt(6)
	v_cmp_lt_f32_e32 vcc, v2, v5
	v_cndmask_b32_e32 v2, v2, v5, vcc
	s_waitcnt vmcnt(5)
	v_cmp_lt_f32_e32 vcc, v2, v6
	v_cndmask_b32_e32 v2, v2, v6, vcc
	;; [unrolled: 3-line block ×7, first 2 shown]
	s_nop 1
	v_mov_b32_dpp v5, v2 quad_perm:[1,0,3,2] row_mask:0xf bank_mask:0xf bound_ctrl:1
	v_cmp_gt_f32_e32 vcc, v2, v5
	v_cndmask_b32_e32 v2, v5, v2, vcc
	s_nop 1
	v_mov_b32_dpp v5, v2 quad_perm:[2,3,0,1] row_mask:0xf bank_mask:0xf bound_ctrl:1
	v_cmp_gt_f32_e32 vcc, v2, v5
	v_cndmask_b32_e32 v2, v5, v2, vcc
	s_nop 1
	v_mov_b32_dpp v5, v2 row_ror:4 row_mask:0xf bank_mask:0xf bound_ctrl:1
	v_cmp_gt_f32_e32 vcc, v2, v5
	v_cndmask_b32_e32 v2, v5, v2, vcc
	s_nop 1
	v_mov_b32_dpp v5, v2 row_ror:8 row_mask:0xf bank_mask:0xf bound_ctrl:1
	v_cmp_gt_f32_e32 vcc, v2, v5
	v_cndmask_b32_e32 v2, v5, v2, vcc
	s_nop 1
	v_mov_b32_dpp v5, v2 row_bcast:15 row_mask:0xf bank_mask:0xf bound_ctrl:1
	v_cmp_gt_f32_e32 vcc, v2, v5
	v_cndmask_b32_e32 v2, v5, v2, vcc
	s_nop 1
	v_mov_b32_dpp v5, v2 row_bcast:31 row_mask:0xf bank_mask:0xf bound_ctrl:1
	v_cmp_gt_f32_e32 vcc, v2, v5
	v_cndmask_b32_e32 v2, v5, v2, vcc
	v_or_b32_e32 v5, 0xfc, v4
	ds_bpermute_b32 v2, v5, v2
	v_cmp_eq_u32_e32 vcc, 0, v3
	s_and_saveexec_b64 s[2:3], vcc
	s_cbranch_execz .LBB3_3
; %bb.2:
	v_lshrrev_b32_e32 v5, 4, v0
	v_and_b32_e32 v5, 4, v5
	s_waitcnt lgkmcnt(0)
	ds_write_b32 v5, v2
.LBB3_3:
	s_or_b64 exec, exec, s[2:3]
	v_cmp_gt_u32_e32 vcc, 64, v0
	s_waitcnt lgkmcnt(0)
	s_barrier
	s_and_saveexec_b64 s[2:3], vcc
	s_cbranch_execz .LBB3_5
; %bb.4:
	v_and_b32_e32 v2, 1, v3
	v_lshlrev_b32_e32 v2, 2, v2
	ds_read_b32 v2, v2
	v_or_b32_e32 v3, 4, v4
	s_waitcnt lgkmcnt(0)
	ds_bpermute_b32 v3, v3, v2
	s_waitcnt lgkmcnt(0)
	v_cmp_lt_f32_e32 vcc, v2, v3
	v_cndmask_b32_e32 v2, v2, v3, vcc
.LBB3_5:
	s_or_b64 exec, exec, s[2:3]
	s_load_dword s26, s[4:5], 0x30
	s_branch .LBB3_28
.LBB3_6:
                                        ; implicit-def: $vgpr2
	s_load_dword s26, s[4:5], 0x30
	s_cbranch_execz .LBB3_28
; %bb.7:
	s_sub_i32 s27, s16, s0
	v_cmp_gt_u32_e32 vcc, s27, v0
                                        ; implicit-def: $vgpr2_vgpr3_vgpr4_vgpr5_vgpr6_vgpr7_vgpr8_vgpr9
	s_and_saveexec_b64 s[0:1], vcc
	s_cbranch_execz .LBB3_9
; %bb.8:
	global_load_dword v2, v10, s[14:15]
.LBB3_9:
	s_or_b64 exec, exec, s[0:1]
	v_or_b32_e32 v11, 0x80, v0
	v_cmp_gt_u32_e32 vcc, s27, v11
	s_and_saveexec_b64 s[0:1], vcc
	s_cbranch_execz .LBB3_11
; %bb.10:
	global_load_dword v3, v10, s[14:15] offset:512
.LBB3_11:
	s_or_b64 exec, exec, s[0:1]
	v_or_b32_e32 v11, 0x100, v0
	v_cmp_gt_u32_e64 s[0:1], s27, v11
	s_and_saveexec_b64 s[2:3], s[0:1]
	s_cbranch_execz .LBB3_13
; %bb.12:
	global_load_dword v4, v10, s[14:15] offset:1024
.LBB3_13:
	s_or_b64 exec, exec, s[2:3]
	v_or_b32_e32 v11, 0x180, v0
	v_cmp_gt_u32_e64 s[2:3], s27, v11
	s_and_saveexec_b64 s[4:5], s[2:3]
	s_cbranch_execz .LBB3_15
; %bb.14:
	global_load_dword v5, v10, s[14:15] offset:1536
.LBB3_15:
	s_or_b64 exec, exec, s[4:5]
	v_or_b32_e32 v11, 0x200, v0
	v_cmp_gt_u32_e64 s[4:5], s27, v11
	s_and_saveexec_b64 s[8:9], s[4:5]
	s_cbranch_execz .LBB3_17
; %bb.16:
	global_load_dword v6, v10, s[14:15] offset:2048
.LBB3_17:
	s_or_b64 exec, exec, s[8:9]
	v_or_b32_e32 v11, 0x280, v0
	v_cmp_gt_u32_e64 s[8:9], s27, v11
	s_and_saveexec_b64 s[10:11], s[8:9]
	s_cbranch_execz .LBB3_19
; %bb.18:
	global_load_dword v7, v10, s[14:15] offset:2560
.LBB3_19:
	s_or_b64 exec, exec, s[10:11]
	v_or_b32_e32 v11, 0x300, v0
	v_cmp_gt_u32_e64 s[10:11], s27, v11
	s_and_saveexec_b64 s[12:13], s[10:11]
	s_cbranch_execz .LBB3_21
; %bb.20:
	global_load_dword v8, v10, s[14:15] offset:3072
.LBB3_21:
	s_or_b64 exec, exec, s[12:13]
	v_or_b32_e32 v11, 0x380, v0
	v_cmp_gt_u32_e64 s[12:13], s27, v11
	s_and_saveexec_b64 s[24:25], s[12:13]
	s_cbranch_execz .LBB3_23
; %bb.22:
	global_load_dword v9, v10, s[14:15] offset:3584
.LBB3_23:
	s_or_b64 exec, exec, s[24:25]
	s_waitcnt vmcnt(0)
	v_cmp_lt_f32_e64 s[14:15], v2, v3
	s_and_b64 vcc, vcc, s[14:15]
	v_cndmask_b32_e32 v2, v2, v3, vcc
	v_cmp_lt_f32_e32 vcc, v2, v4
	s_and_b64 vcc, s[0:1], vcc
	v_cndmask_b32_e32 v2, v2, v4, vcc
	v_cmp_lt_f32_e32 vcc, v2, v5
	s_and_b64 vcc, s[2:3], vcc
	;; [unrolled: 3-line block ×5, first 2 shown]
	v_cndmask_b32_e32 v2, v2, v8, vcc
	v_cmp_lt_f32_e32 vcc, v2, v9
	v_mbcnt_hi_u32_b32 v1, -1, v1
	s_and_b64 vcc, s[12:13], vcc
	v_and_b32_e32 v3, 63, v1
	v_cndmask_b32_e32 v2, v2, v9, vcc
	v_cmp_ne_u32_e32 vcc, 63, v3
	v_addc_co_u32_e32 v4, vcc, 0, v1, vcc
	v_lshlrev_b32_e32 v4, 2, v4
	ds_bpermute_b32 v4, v4, v2
	s_min_u32 s4, s27, 0x80
	v_and_b32_e32 v5, 64, v0
	v_sub_u32_e64 v5, s4, v5 clamp
	v_add_u32_e32 v6, 1, v3
	s_waitcnt lgkmcnt(0)
	v_cmp_lt_f32_e32 vcc, v2, v4
	v_cmp_gt_u32_e64 s[0:1], 62, v3
	v_cndmask_b32_e32 v4, v2, v4, vcc
	v_cmp_lt_u32_e32 vcc, v6, v5
	v_cndmask_b32_e64 v6, 0, 1, s[0:1]
	v_lshlrev_b32_e32 v6, 1, v6
	v_cndmask_b32_e32 v4, v2, v4, vcc
	v_add_lshl_u32 v6, v6, v1, 2
	ds_bpermute_b32 v6, v6, v4
	v_add_u32_e32 v7, 2, v3
	s_waitcnt lgkmcnt(0)
	v_cmp_lt_f32_e64 s[0:1], v4, v6
	v_cndmask_b32_e64 v6, v4, v6, s[0:1]
	v_cmp_lt_u32_e64 s[0:1], v7, v5
	v_cndmask_b32_e64 v4, v4, v6, s[0:1]
	v_cmp_gt_u32_e64 s[0:1], 60, v3
	v_cndmask_b32_e64 v6, 0, 1, s[0:1]
	v_lshlrev_b32_e32 v6, 2, v6
	v_add_lshl_u32 v6, v6, v1, 2
	ds_bpermute_b32 v6, v6, v4
	v_add_u32_e32 v7, 4, v3
	s_waitcnt lgkmcnt(0)
	v_cmp_lt_f32_e64 s[0:1], v4, v6
	v_cndmask_b32_e64 v6, v4, v6, s[0:1]
	v_cmp_lt_u32_e64 s[0:1], v7, v5
	v_cndmask_b32_e64 v4, v4, v6, s[0:1]
	v_cmp_gt_u32_e64 s[0:1], 56, v3
	v_cndmask_b32_e64 v6, 0, 1, s[0:1]
	v_lshlrev_b32_e32 v6, 3, v6
	;; [unrolled: 11-line block ×4, first 2 shown]
	v_add_lshl_u32 v6, v6, v1, 2
	ds_bpermute_b32 v6, v6, v4
	v_add_u32_e32 v3, 32, v3
	v_cmp_lt_u32_e64 s[0:1], v3, v5
	s_waitcnt lgkmcnt(0)
	v_cmp_lt_f32_e64 s[2:3], v4, v6
	s_and_b64 s[0:1], s[0:1], s[2:3]
	v_cndmask_b32_e64 v3, v4, v6, s[0:1]
	v_cndmask_b32_e32 v2, v2, v3, vcc
	v_cmp_eq_u32_e32 vcc, 0, v1
	s_and_saveexec_b64 s[0:1], vcc
	s_cbranch_execz .LBB3_25
; %bb.24:
	v_lshrrev_b32_e32 v3, 4, v0
	v_and_b32_e32 v3, 4, v3
	ds_write_b32 v3, v2 offset:8
.LBB3_25:
	s_or_b64 exec, exec, s[0:1]
	v_cmp_gt_u32_e32 vcc, 2, v0
	s_waitcnt lgkmcnt(0)
	s_barrier
	s_and_saveexec_b64 s[2:3], vcc
	s_cbranch_execz .LBB3_27
; %bb.26:
	v_lshlrev_b32_e32 v2, 2, v1
	ds_read_b32 v3, v2 offset:8
	v_or_b32_e32 v2, 4, v2
	s_add_i32 s4, s4, 63
	v_and_b32_e32 v1, 1, v1
	s_lshr_b32 s0, s4, 6
	s_waitcnt lgkmcnt(0)
	ds_bpermute_b32 v2, v2, v3
	v_add_u32_e32 v1, 1, v1
	v_cmp_gt_u32_e32 vcc, s0, v1
	s_waitcnt lgkmcnt(0)
	v_cmp_lt_f32_e64 s[0:1], v3, v2
	s_and_b64 vcc, vcc, s[0:1]
	v_cndmask_b32_e32 v2, v3, v2, vcc
.LBB3_27:
	s_or_b64 exec, exec, s[2:3]
.LBB3_28:
	v_cmp_eq_u32_e32 vcc, 0, v0
	s_and_saveexec_b64 s[0:1], vcc
	s_cbranch_execnz .LBB3_30
; %bb.29:
	s_endpgm
.LBB3_30:
	s_mul_i32 s0, s22, s21
	s_mul_hi_u32 s1, s22, s20
	s_add_i32 s0, s1, s0
	s_mul_i32 s1, s23, s20
	s_add_i32 s1, s0, s1
	s_mul_i32 s0, s22, s20
	s_lshl_b64 s[0:1], s[0:1], 2
	s_add_u32 s2, s18, s0
	s_addc_u32 s3, s19, s1
	s_cmp_eq_u64 s[16:17], 0
	s_cselect_b64 vcc, -1, 0
	s_lshl_b64 s[0:1], s[6:7], 2
	s_waitcnt lgkmcnt(0)
	v_mov_b32_e32 v0, s26
	s_add_u32 s0, s2, s0
	v_cndmask_b32_e32 v0, v2, v0, vcc
	s_addc_u32 s1, s3, s1
	v_mov_b32_e32 v1, 0
	global_store_dword v1, v0, s[0:1]
	s_endpgm
	.section	.rodata,"a",@progbits
	.p2align	6, 0x0
	.amdhsa_kernel _ZN7rocprim17ROCPRIM_400000_NS6detail17trampoline_kernelINS0_14default_configENS1_22reduce_config_selectorIfEEZNS1_11reduce_implILb1ES3_PfS7_fN6thrust23THRUST_200600_302600_NS7maximumIfEEEE10hipError_tPvRmT1_T2_T3_mT4_P12ihipStream_tbEUlT_E0_NS1_11comp_targetILNS1_3genE4ELNS1_11target_archE910ELNS1_3gpuE8ELNS1_3repE0EEENS1_30default_config_static_selectorELNS0_4arch9wavefront6targetE1EEEvSF_
		.amdhsa_group_segment_fixed_size 16
		.amdhsa_private_segment_fixed_size 0
		.amdhsa_kernarg_size 56
		.amdhsa_user_sgpr_count 6
		.amdhsa_user_sgpr_private_segment_buffer 1
		.amdhsa_user_sgpr_dispatch_ptr 0
		.amdhsa_user_sgpr_queue_ptr 0
		.amdhsa_user_sgpr_kernarg_segment_ptr 1
		.amdhsa_user_sgpr_dispatch_id 0
		.amdhsa_user_sgpr_flat_scratch_init 0
		.amdhsa_user_sgpr_kernarg_preload_length 0
		.amdhsa_user_sgpr_kernarg_preload_offset 0
		.amdhsa_user_sgpr_private_segment_size 0
		.amdhsa_uses_dynamic_stack 0
		.amdhsa_system_sgpr_private_segment_wavefront_offset 0
		.amdhsa_system_sgpr_workgroup_id_x 1
		.amdhsa_system_sgpr_workgroup_id_y 0
		.amdhsa_system_sgpr_workgroup_id_z 0
		.amdhsa_system_sgpr_workgroup_info 0
		.amdhsa_system_vgpr_workitem_id 0
		.amdhsa_next_free_vgpr 13
		.amdhsa_next_free_sgpr 28
		.amdhsa_accum_offset 16
		.amdhsa_reserve_vcc 1
		.amdhsa_reserve_flat_scratch 0
		.amdhsa_float_round_mode_32 0
		.amdhsa_float_round_mode_16_64 0
		.amdhsa_float_denorm_mode_32 3
		.amdhsa_float_denorm_mode_16_64 3
		.amdhsa_dx10_clamp 1
		.amdhsa_ieee_mode 1
		.amdhsa_fp16_overflow 0
		.amdhsa_tg_split 0
		.amdhsa_exception_fp_ieee_invalid_op 0
		.amdhsa_exception_fp_denorm_src 0
		.amdhsa_exception_fp_ieee_div_zero 0
		.amdhsa_exception_fp_ieee_overflow 0
		.amdhsa_exception_fp_ieee_underflow 0
		.amdhsa_exception_fp_ieee_inexact 0
		.amdhsa_exception_int_div_zero 0
	.end_amdhsa_kernel
	.section	.text._ZN7rocprim17ROCPRIM_400000_NS6detail17trampoline_kernelINS0_14default_configENS1_22reduce_config_selectorIfEEZNS1_11reduce_implILb1ES3_PfS7_fN6thrust23THRUST_200600_302600_NS7maximumIfEEEE10hipError_tPvRmT1_T2_T3_mT4_P12ihipStream_tbEUlT_E0_NS1_11comp_targetILNS1_3genE4ELNS1_11target_archE910ELNS1_3gpuE8ELNS1_3repE0EEENS1_30default_config_static_selectorELNS0_4arch9wavefront6targetE1EEEvSF_,"axG",@progbits,_ZN7rocprim17ROCPRIM_400000_NS6detail17trampoline_kernelINS0_14default_configENS1_22reduce_config_selectorIfEEZNS1_11reduce_implILb1ES3_PfS7_fN6thrust23THRUST_200600_302600_NS7maximumIfEEEE10hipError_tPvRmT1_T2_T3_mT4_P12ihipStream_tbEUlT_E0_NS1_11comp_targetILNS1_3genE4ELNS1_11target_archE910ELNS1_3gpuE8ELNS1_3repE0EEENS1_30default_config_static_selectorELNS0_4arch9wavefront6targetE1EEEvSF_,comdat
.Lfunc_end3:
	.size	_ZN7rocprim17ROCPRIM_400000_NS6detail17trampoline_kernelINS0_14default_configENS1_22reduce_config_selectorIfEEZNS1_11reduce_implILb1ES3_PfS7_fN6thrust23THRUST_200600_302600_NS7maximumIfEEEE10hipError_tPvRmT1_T2_T3_mT4_P12ihipStream_tbEUlT_E0_NS1_11comp_targetILNS1_3genE4ELNS1_11target_archE910ELNS1_3gpuE8ELNS1_3repE0EEENS1_30default_config_static_selectorELNS0_4arch9wavefront6targetE1EEEvSF_, .Lfunc_end3-_ZN7rocprim17ROCPRIM_400000_NS6detail17trampoline_kernelINS0_14default_configENS1_22reduce_config_selectorIfEEZNS1_11reduce_implILb1ES3_PfS7_fN6thrust23THRUST_200600_302600_NS7maximumIfEEEE10hipError_tPvRmT1_T2_T3_mT4_P12ihipStream_tbEUlT_E0_NS1_11comp_targetILNS1_3genE4ELNS1_11target_archE910ELNS1_3gpuE8ELNS1_3repE0EEENS1_30default_config_static_selectorELNS0_4arch9wavefront6targetE1EEEvSF_
                                        ; -- End function
	.section	.AMDGPU.csdata,"",@progbits
; Kernel info:
; codeLenInByte = 1552
; NumSgprs: 32
; NumVgprs: 13
; NumAgprs: 0
; TotalNumVgprs: 13
; ScratchSize: 0
; MemoryBound: 0
; FloatMode: 240
; IeeeMode: 1
; LDSByteSize: 16 bytes/workgroup (compile time only)
; SGPRBlocks: 3
; VGPRBlocks: 1
; NumSGPRsForWavesPerEU: 32
; NumVGPRsForWavesPerEU: 13
; AccumOffset: 16
; Occupancy: 8
; WaveLimiterHint : 1
; COMPUTE_PGM_RSRC2:SCRATCH_EN: 0
; COMPUTE_PGM_RSRC2:USER_SGPR: 6
; COMPUTE_PGM_RSRC2:TRAP_HANDLER: 0
; COMPUTE_PGM_RSRC2:TGID_X_EN: 1
; COMPUTE_PGM_RSRC2:TGID_Y_EN: 0
; COMPUTE_PGM_RSRC2:TGID_Z_EN: 0
; COMPUTE_PGM_RSRC2:TIDIG_COMP_CNT: 0
; COMPUTE_PGM_RSRC3_GFX90A:ACCUM_OFFSET: 3
; COMPUTE_PGM_RSRC3_GFX90A:TG_SPLIT: 0
	.section	.text._ZN7rocprim17ROCPRIM_400000_NS6detail17trampoline_kernelINS0_14default_configENS1_22reduce_config_selectorIfEEZNS1_11reduce_implILb1ES3_PfS7_fN6thrust23THRUST_200600_302600_NS7maximumIfEEEE10hipError_tPvRmT1_T2_T3_mT4_P12ihipStream_tbEUlT_E0_NS1_11comp_targetILNS1_3genE3ELNS1_11target_archE908ELNS1_3gpuE7ELNS1_3repE0EEENS1_30default_config_static_selectorELNS0_4arch9wavefront6targetE1EEEvSF_,"axG",@progbits,_ZN7rocprim17ROCPRIM_400000_NS6detail17trampoline_kernelINS0_14default_configENS1_22reduce_config_selectorIfEEZNS1_11reduce_implILb1ES3_PfS7_fN6thrust23THRUST_200600_302600_NS7maximumIfEEEE10hipError_tPvRmT1_T2_T3_mT4_P12ihipStream_tbEUlT_E0_NS1_11comp_targetILNS1_3genE3ELNS1_11target_archE908ELNS1_3gpuE7ELNS1_3repE0EEENS1_30default_config_static_selectorELNS0_4arch9wavefront6targetE1EEEvSF_,comdat
	.protected	_ZN7rocprim17ROCPRIM_400000_NS6detail17trampoline_kernelINS0_14default_configENS1_22reduce_config_selectorIfEEZNS1_11reduce_implILb1ES3_PfS7_fN6thrust23THRUST_200600_302600_NS7maximumIfEEEE10hipError_tPvRmT1_T2_T3_mT4_P12ihipStream_tbEUlT_E0_NS1_11comp_targetILNS1_3genE3ELNS1_11target_archE908ELNS1_3gpuE7ELNS1_3repE0EEENS1_30default_config_static_selectorELNS0_4arch9wavefront6targetE1EEEvSF_ ; -- Begin function _ZN7rocprim17ROCPRIM_400000_NS6detail17trampoline_kernelINS0_14default_configENS1_22reduce_config_selectorIfEEZNS1_11reduce_implILb1ES3_PfS7_fN6thrust23THRUST_200600_302600_NS7maximumIfEEEE10hipError_tPvRmT1_T2_T3_mT4_P12ihipStream_tbEUlT_E0_NS1_11comp_targetILNS1_3genE3ELNS1_11target_archE908ELNS1_3gpuE7ELNS1_3repE0EEENS1_30default_config_static_selectorELNS0_4arch9wavefront6targetE1EEEvSF_
	.globl	_ZN7rocprim17ROCPRIM_400000_NS6detail17trampoline_kernelINS0_14default_configENS1_22reduce_config_selectorIfEEZNS1_11reduce_implILb1ES3_PfS7_fN6thrust23THRUST_200600_302600_NS7maximumIfEEEE10hipError_tPvRmT1_T2_T3_mT4_P12ihipStream_tbEUlT_E0_NS1_11comp_targetILNS1_3genE3ELNS1_11target_archE908ELNS1_3gpuE7ELNS1_3repE0EEENS1_30default_config_static_selectorELNS0_4arch9wavefront6targetE1EEEvSF_
	.p2align	8
	.type	_ZN7rocprim17ROCPRIM_400000_NS6detail17trampoline_kernelINS0_14default_configENS1_22reduce_config_selectorIfEEZNS1_11reduce_implILb1ES3_PfS7_fN6thrust23THRUST_200600_302600_NS7maximumIfEEEE10hipError_tPvRmT1_T2_T3_mT4_P12ihipStream_tbEUlT_E0_NS1_11comp_targetILNS1_3genE3ELNS1_11target_archE908ELNS1_3gpuE7ELNS1_3repE0EEENS1_30default_config_static_selectorELNS0_4arch9wavefront6targetE1EEEvSF_,@function
_ZN7rocprim17ROCPRIM_400000_NS6detail17trampoline_kernelINS0_14default_configENS1_22reduce_config_selectorIfEEZNS1_11reduce_implILb1ES3_PfS7_fN6thrust23THRUST_200600_302600_NS7maximumIfEEEE10hipError_tPvRmT1_T2_T3_mT4_P12ihipStream_tbEUlT_E0_NS1_11comp_targetILNS1_3genE3ELNS1_11target_archE908ELNS1_3gpuE7ELNS1_3repE0EEENS1_30default_config_static_selectorELNS0_4arch9wavefront6targetE1EEEvSF_: ; @_ZN7rocprim17ROCPRIM_400000_NS6detail17trampoline_kernelINS0_14default_configENS1_22reduce_config_selectorIfEEZNS1_11reduce_implILb1ES3_PfS7_fN6thrust23THRUST_200600_302600_NS7maximumIfEEEE10hipError_tPvRmT1_T2_T3_mT4_P12ihipStream_tbEUlT_E0_NS1_11comp_targetILNS1_3genE3ELNS1_11target_archE908ELNS1_3gpuE7ELNS1_3repE0EEENS1_30default_config_static_selectorELNS0_4arch9wavefront6targetE1EEEvSF_
; %bb.0:
	.section	.rodata,"a",@progbits
	.p2align	6, 0x0
	.amdhsa_kernel _ZN7rocprim17ROCPRIM_400000_NS6detail17trampoline_kernelINS0_14default_configENS1_22reduce_config_selectorIfEEZNS1_11reduce_implILb1ES3_PfS7_fN6thrust23THRUST_200600_302600_NS7maximumIfEEEE10hipError_tPvRmT1_T2_T3_mT4_P12ihipStream_tbEUlT_E0_NS1_11comp_targetILNS1_3genE3ELNS1_11target_archE908ELNS1_3gpuE7ELNS1_3repE0EEENS1_30default_config_static_selectorELNS0_4arch9wavefront6targetE1EEEvSF_
		.amdhsa_group_segment_fixed_size 0
		.amdhsa_private_segment_fixed_size 0
		.amdhsa_kernarg_size 56
		.amdhsa_user_sgpr_count 6
		.amdhsa_user_sgpr_private_segment_buffer 1
		.amdhsa_user_sgpr_dispatch_ptr 0
		.amdhsa_user_sgpr_queue_ptr 0
		.amdhsa_user_sgpr_kernarg_segment_ptr 1
		.amdhsa_user_sgpr_dispatch_id 0
		.amdhsa_user_sgpr_flat_scratch_init 0
		.amdhsa_user_sgpr_kernarg_preload_length 0
		.amdhsa_user_sgpr_kernarg_preload_offset 0
		.amdhsa_user_sgpr_private_segment_size 0
		.amdhsa_uses_dynamic_stack 0
		.amdhsa_system_sgpr_private_segment_wavefront_offset 0
		.amdhsa_system_sgpr_workgroup_id_x 1
		.amdhsa_system_sgpr_workgroup_id_y 0
		.amdhsa_system_sgpr_workgroup_id_z 0
		.amdhsa_system_sgpr_workgroup_info 0
		.amdhsa_system_vgpr_workitem_id 0
		.amdhsa_next_free_vgpr 1
		.amdhsa_next_free_sgpr 0
		.amdhsa_accum_offset 4
		.amdhsa_reserve_vcc 0
		.amdhsa_reserve_flat_scratch 0
		.amdhsa_float_round_mode_32 0
		.amdhsa_float_round_mode_16_64 0
		.amdhsa_float_denorm_mode_32 3
		.amdhsa_float_denorm_mode_16_64 3
		.amdhsa_dx10_clamp 1
		.amdhsa_ieee_mode 1
		.amdhsa_fp16_overflow 0
		.amdhsa_tg_split 0
		.amdhsa_exception_fp_ieee_invalid_op 0
		.amdhsa_exception_fp_denorm_src 0
		.amdhsa_exception_fp_ieee_div_zero 0
		.amdhsa_exception_fp_ieee_overflow 0
		.amdhsa_exception_fp_ieee_underflow 0
		.amdhsa_exception_fp_ieee_inexact 0
		.amdhsa_exception_int_div_zero 0
	.end_amdhsa_kernel
	.section	.text._ZN7rocprim17ROCPRIM_400000_NS6detail17trampoline_kernelINS0_14default_configENS1_22reduce_config_selectorIfEEZNS1_11reduce_implILb1ES3_PfS7_fN6thrust23THRUST_200600_302600_NS7maximumIfEEEE10hipError_tPvRmT1_T2_T3_mT4_P12ihipStream_tbEUlT_E0_NS1_11comp_targetILNS1_3genE3ELNS1_11target_archE908ELNS1_3gpuE7ELNS1_3repE0EEENS1_30default_config_static_selectorELNS0_4arch9wavefront6targetE1EEEvSF_,"axG",@progbits,_ZN7rocprim17ROCPRIM_400000_NS6detail17trampoline_kernelINS0_14default_configENS1_22reduce_config_selectorIfEEZNS1_11reduce_implILb1ES3_PfS7_fN6thrust23THRUST_200600_302600_NS7maximumIfEEEE10hipError_tPvRmT1_T2_T3_mT4_P12ihipStream_tbEUlT_E0_NS1_11comp_targetILNS1_3genE3ELNS1_11target_archE908ELNS1_3gpuE7ELNS1_3repE0EEENS1_30default_config_static_selectorELNS0_4arch9wavefront6targetE1EEEvSF_,comdat
.Lfunc_end4:
	.size	_ZN7rocprim17ROCPRIM_400000_NS6detail17trampoline_kernelINS0_14default_configENS1_22reduce_config_selectorIfEEZNS1_11reduce_implILb1ES3_PfS7_fN6thrust23THRUST_200600_302600_NS7maximumIfEEEE10hipError_tPvRmT1_T2_T3_mT4_P12ihipStream_tbEUlT_E0_NS1_11comp_targetILNS1_3genE3ELNS1_11target_archE908ELNS1_3gpuE7ELNS1_3repE0EEENS1_30default_config_static_selectorELNS0_4arch9wavefront6targetE1EEEvSF_, .Lfunc_end4-_ZN7rocprim17ROCPRIM_400000_NS6detail17trampoline_kernelINS0_14default_configENS1_22reduce_config_selectorIfEEZNS1_11reduce_implILb1ES3_PfS7_fN6thrust23THRUST_200600_302600_NS7maximumIfEEEE10hipError_tPvRmT1_T2_T3_mT4_P12ihipStream_tbEUlT_E0_NS1_11comp_targetILNS1_3genE3ELNS1_11target_archE908ELNS1_3gpuE7ELNS1_3repE0EEENS1_30default_config_static_selectorELNS0_4arch9wavefront6targetE1EEEvSF_
                                        ; -- End function
	.section	.AMDGPU.csdata,"",@progbits
; Kernel info:
; codeLenInByte = 0
; NumSgprs: 4
; NumVgprs: 0
; NumAgprs: 0
; TotalNumVgprs: 0
; ScratchSize: 0
; MemoryBound: 0
; FloatMode: 240
; IeeeMode: 1
; LDSByteSize: 0 bytes/workgroup (compile time only)
; SGPRBlocks: 0
; VGPRBlocks: 0
; NumSGPRsForWavesPerEU: 4
; NumVGPRsForWavesPerEU: 1
; AccumOffset: 4
; Occupancy: 8
; WaveLimiterHint : 0
; COMPUTE_PGM_RSRC2:SCRATCH_EN: 0
; COMPUTE_PGM_RSRC2:USER_SGPR: 6
; COMPUTE_PGM_RSRC2:TRAP_HANDLER: 0
; COMPUTE_PGM_RSRC2:TGID_X_EN: 1
; COMPUTE_PGM_RSRC2:TGID_Y_EN: 0
; COMPUTE_PGM_RSRC2:TGID_Z_EN: 0
; COMPUTE_PGM_RSRC2:TIDIG_COMP_CNT: 0
; COMPUTE_PGM_RSRC3_GFX90A:ACCUM_OFFSET: 0
; COMPUTE_PGM_RSRC3_GFX90A:TG_SPLIT: 0
	.section	.text._ZN7rocprim17ROCPRIM_400000_NS6detail17trampoline_kernelINS0_14default_configENS1_22reduce_config_selectorIfEEZNS1_11reduce_implILb1ES3_PfS7_fN6thrust23THRUST_200600_302600_NS7maximumIfEEEE10hipError_tPvRmT1_T2_T3_mT4_P12ihipStream_tbEUlT_E0_NS1_11comp_targetILNS1_3genE2ELNS1_11target_archE906ELNS1_3gpuE6ELNS1_3repE0EEENS1_30default_config_static_selectorELNS0_4arch9wavefront6targetE1EEEvSF_,"axG",@progbits,_ZN7rocprim17ROCPRIM_400000_NS6detail17trampoline_kernelINS0_14default_configENS1_22reduce_config_selectorIfEEZNS1_11reduce_implILb1ES3_PfS7_fN6thrust23THRUST_200600_302600_NS7maximumIfEEEE10hipError_tPvRmT1_T2_T3_mT4_P12ihipStream_tbEUlT_E0_NS1_11comp_targetILNS1_3genE2ELNS1_11target_archE906ELNS1_3gpuE6ELNS1_3repE0EEENS1_30default_config_static_selectorELNS0_4arch9wavefront6targetE1EEEvSF_,comdat
	.protected	_ZN7rocprim17ROCPRIM_400000_NS6detail17trampoline_kernelINS0_14default_configENS1_22reduce_config_selectorIfEEZNS1_11reduce_implILb1ES3_PfS7_fN6thrust23THRUST_200600_302600_NS7maximumIfEEEE10hipError_tPvRmT1_T2_T3_mT4_P12ihipStream_tbEUlT_E0_NS1_11comp_targetILNS1_3genE2ELNS1_11target_archE906ELNS1_3gpuE6ELNS1_3repE0EEENS1_30default_config_static_selectorELNS0_4arch9wavefront6targetE1EEEvSF_ ; -- Begin function _ZN7rocprim17ROCPRIM_400000_NS6detail17trampoline_kernelINS0_14default_configENS1_22reduce_config_selectorIfEEZNS1_11reduce_implILb1ES3_PfS7_fN6thrust23THRUST_200600_302600_NS7maximumIfEEEE10hipError_tPvRmT1_T2_T3_mT4_P12ihipStream_tbEUlT_E0_NS1_11comp_targetILNS1_3genE2ELNS1_11target_archE906ELNS1_3gpuE6ELNS1_3repE0EEENS1_30default_config_static_selectorELNS0_4arch9wavefront6targetE1EEEvSF_
	.globl	_ZN7rocprim17ROCPRIM_400000_NS6detail17trampoline_kernelINS0_14default_configENS1_22reduce_config_selectorIfEEZNS1_11reduce_implILb1ES3_PfS7_fN6thrust23THRUST_200600_302600_NS7maximumIfEEEE10hipError_tPvRmT1_T2_T3_mT4_P12ihipStream_tbEUlT_E0_NS1_11comp_targetILNS1_3genE2ELNS1_11target_archE906ELNS1_3gpuE6ELNS1_3repE0EEENS1_30default_config_static_selectorELNS0_4arch9wavefront6targetE1EEEvSF_
	.p2align	8
	.type	_ZN7rocprim17ROCPRIM_400000_NS6detail17trampoline_kernelINS0_14default_configENS1_22reduce_config_selectorIfEEZNS1_11reduce_implILb1ES3_PfS7_fN6thrust23THRUST_200600_302600_NS7maximumIfEEEE10hipError_tPvRmT1_T2_T3_mT4_P12ihipStream_tbEUlT_E0_NS1_11comp_targetILNS1_3genE2ELNS1_11target_archE906ELNS1_3gpuE6ELNS1_3repE0EEENS1_30default_config_static_selectorELNS0_4arch9wavefront6targetE1EEEvSF_,@function
_ZN7rocprim17ROCPRIM_400000_NS6detail17trampoline_kernelINS0_14default_configENS1_22reduce_config_selectorIfEEZNS1_11reduce_implILb1ES3_PfS7_fN6thrust23THRUST_200600_302600_NS7maximumIfEEEE10hipError_tPvRmT1_T2_T3_mT4_P12ihipStream_tbEUlT_E0_NS1_11comp_targetILNS1_3genE2ELNS1_11target_archE906ELNS1_3gpuE6ELNS1_3repE0EEENS1_30default_config_static_selectorELNS0_4arch9wavefront6targetE1EEEvSF_: ; @_ZN7rocprim17ROCPRIM_400000_NS6detail17trampoline_kernelINS0_14default_configENS1_22reduce_config_selectorIfEEZNS1_11reduce_implILb1ES3_PfS7_fN6thrust23THRUST_200600_302600_NS7maximumIfEEEE10hipError_tPvRmT1_T2_T3_mT4_P12ihipStream_tbEUlT_E0_NS1_11comp_targetILNS1_3genE2ELNS1_11target_archE906ELNS1_3gpuE6ELNS1_3repE0EEENS1_30default_config_static_selectorELNS0_4arch9wavefront6targetE1EEEvSF_
; %bb.0:
	.section	.rodata,"a",@progbits
	.p2align	6, 0x0
	.amdhsa_kernel _ZN7rocprim17ROCPRIM_400000_NS6detail17trampoline_kernelINS0_14default_configENS1_22reduce_config_selectorIfEEZNS1_11reduce_implILb1ES3_PfS7_fN6thrust23THRUST_200600_302600_NS7maximumIfEEEE10hipError_tPvRmT1_T2_T3_mT4_P12ihipStream_tbEUlT_E0_NS1_11comp_targetILNS1_3genE2ELNS1_11target_archE906ELNS1_3gpuE6ELNS1_3repE0EEENS1_30default_config_static_selectorELNS0_4arch9wavefront6targetE1EEEvSF_
		.amdhsa_group_segment_fixed_size 0
		.amdhsa_private_segment_fixed_size 0
		.amdhsa_kernarg_size 56
		.amdhsa_user_sgpr_count 6
		.amdhsa_user_sgpr_private_segment_buffer 1
		.amdhsa_user_sgpr_dispatch_ptr 0
		.amdhsa_user_sgpr_queue_ptr 0
		.amdhsa_user_sgpr_kernarg_segment_ptr 1
		.amdhsa_user_sgpr_dispatch_id 0
		.amdhsa_user_sgpr_flat_scratch_init 0
		.amdhsa_user_sgpr_kernarg_preload_length 0
		.amdhsa_user_sgpr_kernarg_preload_offset 0
		.amdhsa_user_sgpr_private_segment_size 0
		.amdhsa_uses_dynamic_stack 0
		.amdhsa_system_sgpr_private_segment_wavefront_offset 0
		.amdhsa_system_sgpr_workgroup_id_x 1
		.amdhsa_system_sgpr_workgroup_id_y 0
		.amdhsa_system_sgpr_workgroup_id_z 0
		.amdhsa_system_sgpr_workgroup_info 0
		.amdhsa_system_vgpr_workitem_id 0
		.amdhsa_next_free_vgpr 1
		.amdhsa_next_free_sgpr 0
		.amdhsa_accum_offset 4
		.amdhsa_reserve_vcc 0
		.amdhsa_reserve_flat_scratch 0
		.amdhsa_float_round_mode_32 0
		.amdhsa_float_round_mode_16_64 0
		.amdhsa_float_denorm_mode_32 3
		.amdhsa_float_denorm_mode_16_64 3
		.amdhsa_dx10_clamp 1
		.amdhsa_ieee_mode 1
		.amdhsa_fp16_overflow 0
		.amdhsa_tg_split 0
		.amdhsa_exception_fp_ieee_invalid_op 0
		.amdhsa_exception_fp_denorm_src 0
		.amdhsa_exception_fp_ieee_div_zero 0
		.amdhsa_exception_fp_ieee_overflow 0
		.amdhsa_exception_fp_ieee_underflow 0
		.amdhsa_exception_fp_ieee_inexact 0
		.amdhsa_exception_int_div_zero 0
	.end_amdhsa_kernel
	.section	.text._ZN7rocprim17ROCPRIM_400000_NS6detail17trampoline_kernelINS0_14default_configENS1_22reduce_config_selectorIfEEZNS1_11reduce_implILb1ES3_PfS7_fN6thrust23THRUST_200600_302600_NS7maximumIfEEEE10hipError_tPvRmT1_T2_T3_mT4_P12ihipStream_tbEUlT_E0_NS1_11comp_targetILNS1_3genE2ELNS1_11target_archE906ELNS1_3gpuE6ELNS1_3repE0EEENS1_30default_config_static_selectorELNS0_4arch9wavefront6targetE1EEEvSF_,"axG",@progbits,_ZN7rocprim17ROCPRIM_400000_NS6detail17trampoline_kernelINS0_14default_configENS1_22reduce_config_selectorIfEEZNS1_11reduce_implILb1ES3_PfS7_fN6thrust23THRUST_200600_302600_NS7maximumIfEEEE10hipError_tPvRmT1_T2_T3_mT4_P12ihipStream_tbEUlT_E0_NS1_11comp_targetILNS1_3genE2ELNS1_11target_archE906ELNS1_3gpuE6ELNS1_3repE0EEENS1_30default_config_static_selectorELNS0_4arch9wavefront6targetE1EEEvSF_,comdat
.Lfunc_end5:
	.size	_ZN7rocprim17ROCPRIM_400000_NS6detail17trampoline_kernelINS0_14default_configENS1_22reduce_config_selectorIfEEZNS1_11reduce_implILb1ES3_PfS7_fN6thrust23THRUST_200600_302600_NS7maximumIfEEEE10hipError_tPvRmT1_T2_T3_mT4_P12ihipStream_tbEUlT_E0_NS1_11comp_targetILNS1_3genE2ELNS1_11target_archE906ELNS1_3gpuE6ELNS1_3repE0EEENS1_30default_config_static_selectorELNS0_4arch9wavefront6targetE1EEEvSF_, .Lfunc_end5-_ZN7rocprim17ROCPRIM_400000_NS6detail17trampoline_kernelINS0_14default_configENS1_22reduce_config_selectorIfEEZNS1_11reduce_implILb1ES3_PfS7_fN6thrust23THRUST_200600_302600_NS7maximumIfEEEE10hipError_tPvRmT1_T2_T3_mT4_P12ihipStream_tbEUlT_E0_NS1_11comp_targetILNS1_3genE2ELNS1_11target_archE906ELNS1_3gpuE6ELNS1_3repE0EEENS1_30default_config_static_selectorELNS0_4arch9wavefront6targetE1EEEvSF_
                                        ; -- End function
	.section	.AMDGPU.csdata,"",@progbits
; Kernel info:
; codeLenInByte = 0
; NumSgprs: 4
; NumVgprs: 0
; NumAgprs: 0
; TotalNumVgprs: 0
; ScratchSize: 0
; MemoryBound: 0
; FloatMode: 240
; IeeeMode: 1
; LDSByteSize: 0 bytes/workgroup (compile time only)
; SGPRBlocks: 0
; VGPRBlocks: 0
; NumSGPRsForWavesPerEU: 4
; NumVGPRsForWavesPerEU: 1
; AccumOffset: 4
; Occupancy: 8
; WaveLimiterHint : 0
; COMPUTE_PGM_RSRC2:SCRATCH_EN: 0
; COMPUTE_PGM_RSRC2:USER_SGPR: 6
; COMPUTE_PGM_RSRC2:TRAP_HANDLER: 0
; COMPUTE_PGM_RSRC2:TGID_X_EN: 1
; COMPUTE_PGM_RSRC2:TGID_Y_EN: 0
; COMPUTE_PGM_RSRC2:TGID_Z_EN: 0
; COMPUTE_PGM_RSRC2:TIDIG_COMP_CNT: 0
; COMPUTE_PGM_RSRC3_GFX90A:ACCUM_OFFSET: 0
; COMPUTE_PGM_RSRC3_GFX90A:TG_SPLIT: 0
	.section	.text._ZN7rocprim17ROCPRIM_400000_NS6detail17trampoline_kernelINS0_14default_configENS1_22reduce_config_selectorIfEEZNS1_11reduce_implILb1ES3_PfS7_fN6thrust23THRUST_200600_302600_NS7maximumIfEEEE10hipError_tPvRmT1_T2_T3_mT4_P12ihipStream_tbEUlT_E0_NS1_11comp_targetILNS1_3genE10ELNS1_11target_archE1201ELNS1_3gpuE5ELNS1_3repE0EEENS1_30default_config_static_selectorELNS0_4arch9wavefront6targetE1EEEvSF_,"axG",@progbits,_ZN7rocprim17ROCPRIM_400000_NS6detail17trampoline_kernelINS0_14default_configENS1_22reduce_config_selectorIfEEZNS1_11reduce_implILb1ES3_PfS7_fN6thrust23THRUST_200600_302600_NS7maximumIfEEEE10hipError_tPvRmT1_T2_T3_mT4_P12ihipStream_tbEUlT_E0_NS1_11comp_targetILNS1_3genE10ELNS1_11target_archE1201ELNS1_3gpuE5ELNS1_3repE0EEENS1_30default_config_static_selectorELNS0_4arch9wavefront6targetE1EEEvSF_,comdat
	.protected	_ZN7rocprim17ROCPRIM_400000_NS6detail17trampoline_kernelINS0_14default_configENS1_22reduce_config_selectorIfEEZNS1_11reduce_implILb1ES3_PfS7_fN6thrust23THRUST_200600_302600_NS7maximumIfEEEE10hipError_tPvRmT1_T2_T3_mT4_P12ihipStream_tbEUlT_E0_NS1_11comp_targetILNS1_3genE10ELNS1_11target_archE1201ELNS1_3gpuE5ELNS1_3repE0EEENS1_30default_config_static_selectorELNS0_4arch9wavefront6targetE1EEEvSF_ ; -- Begin function _ZN7rocprim17ROCPRIM_400000_NS6detail17trampoline_kernelINS0_14default_configENS1_22reduce_config_selectorIfEEZNS1_11reduce_implILb1ES3_PfS7_fN6thrust23THRUST_200600_302600_NS7maximumIfEEEE10hipError_tPvRmT1_T2_T3_mT4_P12ihipStream_tbEUlT_E0_NS1_11comp_targetILNS1_3genE10ELNS1_11target_archE1201ELNS1_3gpuE5ELNS1_3repE0EEENS1_30default_config_static_selectorELNS0_4arch9wavefront6targetE1EEEvSF_
	.globl	_ZN7rocprim17ROCPRIM_400000_NS6detail17trampoline_kernelINS0_14default_configENS1_22reduce_config_selectorIfEEZNS1_11reduce_implILb1ES3_PfS7_fN6thrust23THRUST_200600_302600_NS7maximumIfEEEE10hipError_tPvRmT1_T2_T3_mT4_P12ihipStream_tbEUlT_E0_NS1_11comp_targetILNS1_3genE10ELNS1_11target_archE1201ELNS1_3gpuE5ELNS1_3repE0EEENS1_30default_config_static_selectorELNS0_4arch9wavefront6targetE1EEEvSF_
	.p2align	8
	.type	_ZN7rocprim17ROCPRIM_400000_NS6detail17trampoline_kernelINS0_14default_configENS1_22reduce_config_selectorIfEEZNS1_11reduce_implILb1ES3_PfS7_fN6thrust23THRUST_200600_302600_NS7maximumIfEEEE10hipError_tPvRmT1_T2_T3_mT4_P12ihipStream_tbEUlT_E0_NS1_11comp_targetILNS1_3genE10ELNS1_11target_archE1201ELNS1_3gpuE5ELNS1_3repE0EEENS1_30default_config_static_selectorELNS0_4arch9wavefront6targetE1EEEvSF_,@function
_ZN7rocprim17ROCPRIM_400000_NS6detail17trampoline_kernelINS0_14default_configENS1_22reduce_config_selectorIfEEZNS1_11reduce_implILb1ES3_PfS7_fN6thrust23THRUST_200600_302600_NS7maximumIfEEEE10hipError_tPvRmT1_T2_T3_mT4_P12ihipStream_tbEUlT_E0_NS1_11comp_targetILNS1_3genE10ELNS1_11target_archE1201ELNS1_3gpuE5ELNS1_3repE0EEENS1_30default_config_static_selectorELNS0_4arch9wavefront6targetE1EEEvSF_: ; @_ZN7rocprim17ROCPRIM_400000_NS6detail17trampoline_kernelINS0_14default_configENS1_22reduce_config_selectorIfEEZNS1_11reduce_implILb1ES3_PfS7_fN6thrust23THRUST_200600_302600_NS7maximumIfEEEE10hipError_tPvRmT1_T2_T3_mT4_P12ihipStream_tbEUlT_E0_NS1_11comp_targetILNS1_3genE10ELNS1_11target_archE1201ELNS1_3gpuE5ELNS1_3repE0EEENS1_30default_config_static_selectorELNS0_4arch9wavefront6targetE1EEEvSF_
; %bb.0:
	.section	.rodata,"a",@progbits
	.p2align	6, 0x0
	.amdhsa_kernel _ZN7rocprim17ROCPRIM_400000_NS6detail17trampoline_kernelINS0_14default_configENS1_22reduce_config_selectorIfEEZNS1_11reduce_implILb1ES3_PfS7_fN6thrust23THRUST_200600_302600_NS7maximumIfEEEE10hipError_tPvRmT1_T2_T3_mT4_P12ihipStream_tbEUlT_E0_NS1_11comp_targetILNS1_3genE10ELNS1_11target_archE1201ELNS1_3gpuE5ELNS1_3repE0EEENS1_30default_config_static_selectorELNS0_4arch9wavefront6targetE1EEEvSF_
		.amdhsa_group_segment_fixed_size 0
		.amdhsa_private_segment_fixed_size 0
		.amdhsa_kernarg_size 56
		.amdhsa_user_sgpr_count 6
		.amdhsa_user_sgpr_private_segment_buffer 1
		.amdhsa_user_sgpr_dispatch_ptr 0
		.amdhsa_user_sgpr_queue_ptr 0
		.amdhsa_user_sgpr_kernarg_segment_ptr 1
		.amdhsa_user_sgpr_dispatch_id 0
		.amdhsa_user_sgpr_flat_scratch_init 0
		.amdhsa_user_sgpr_kernarg_preload_length 0
		.amdhsa_user_sgpr_kernarg_preload_offset 0
		.amdhsa_user_sgpr_private_segment_size 0
		.amdhsa_uses_dynamic_stack 0
		.amdhsa_system_sgpr_private_segment_wavefront_offset 0
		.amdhsa_system_sgpr_workgroup_id_x 1
		.amdhsa_system_sgpr_workgroup_id_y 0
		.amdhsa_system_sgpr_workgroup_id_z 0
		.amdhsa_system_sgpr_workgroup_info 0
		.amdhsa_system_vgpr_workitem_id 0
		.amdhsa_next_free_vgpr 1
		.amdhsa_next_free_sgpr 0
		.amdhsa_accum_offset 4
		.amdhsa_reserve_vcc 0
		.amdhsa_reserve_flat_scratch 0
		.amdhsa_float_round_mode_32 0
		.amdhsa_float_round_mode_16_64 0
		.amdhsa_float_denorm_mode_32 3
		.amdhsa_float_denorm_mode_16_64 3
		.amdhsa_dx10_clamp 1
		.amdhsa_ieee_mode 1
		.amdhsa_fp16_overflow 0
		.amdhsa_tg_split 0
		.amdhsa_exception_fp_ieee_invalid_op 0
		.amdhsa_exception_fp_denorm_src 0
		.amdhsa_exception_fp_ieee_div_zero 0
		.amdhsa_exception_fp_ieee_overflow 0
		.amdhsa_exception_fp_ieee_underflow 0
		.amdhsa_exception_fp_ieee_inexact 0
		.amdhsa_exception_int_div_zero 0
	.end_amdhsa_kernel
	.section	.text._ZN7rocprim17ROCPRIM_400000_NS6detail17trampoline_kernelINS0_14default_configENS1_22reduce_config_selectorIfEEZNS1_11reduce_implILb1ES3_PfS7_fN6thrust23THRUST_200600_302600_NS7maximumIfEEEE10hipError_tPvRmT1_T2_T3_mT4_P12ihipStream_tbEUlT_E0_NS1_11comp_targetILNS1_3genE10ELNS1_11target_archE1201ELNS1_3gpuE5ELNS1_3repE0EEENS1_30default_config_static_selectorELNS0_4arch9wavefront6targetE1EEEvSF_,"axG",@progbits,_ZN7rocprim17ROCPRIM_400000_NS6detail17trampoline_kernelINS0_14default_configENS1_22reduce_config_selectorIfEEZNS1_11reduce_implILb1ES3_PfS7_fN6thrust23THRUST_200600_302600_NS7maximumIfEEEE10hipError_tPvRmT1_T2_T3_mT4_P12ihipStream_tbEUlT_E0_NS1_11comp_targetILNS1_3genE10ELNS1_11target_archE1201ELNS1_3gpuE5ELNS1_3repE0EEENS1_30default_config_static_selectorELNS0_4arch9wavefront6targetE1EEEvSF_,comdat
.Lfunc_end6:
	.size	_ZN7rocprim17ROCPRIM_400000_NS6detail17trampoline_kernelINS0_14default_configENS1_22reduce_config_selectorIfEEZNS1_11reduce_implILb1ES3_PfS7_fN6thrust23THRUST_200600_302600_NS7maximumIfEEEE10hipError_tPvRmT1_T2_T3_mT4_P12ihipStream_tbEUlT_E0_NS1_11comp_targetILNS1_3genE10ELNS1_11target_archE1201ELNS1_3gpuE5ELNS1_3repE0EEENS1_30default_config_static_selectorELNS0_4arch9wavefront6targetE1EEEvSF_, .Lfunc_end6-_ZN7rocprim17ROCPRIM_400000_NS6detail17trampoline_kernelINS0_14default_configENS1_22reduce_config_selectorIfEEZNS1_11reduce_implILb1ES3_PfS7_fN6thrust23THRUST_200600_302600_NS7maximumIfEEEE10hipError_tPvRmT1_T2_T3_mT4_P12ihipStream_tbEUlT_E0_NS1_11comp_targetILNS1_3genE10ELNS1_11target_archE1201ELNS1_3gpuE5ELNS1_3repE0EEENS1_30default_config_static_selectorELNS0_4arch9wavefront6targetE1EEEvSF_
                                        ; -- End function
	.section	.AMDGPU.csdata,"",@progbits
; Kernel info:
; codeLenInByte = 0
; NumSgprs: 4
; NumVgprs: 0
; NumAgprs: 0
; TotalNumVgprs: 0
; ScratchSize: 0
; MemoryBound: 0
; FloatMode: 240
; IeeeMode: 1
; LDSByteSize: 0 bytes/workgroup (compile time only)
; SGPRBlocks: 0
; VGPRBlocks: 0
; NumSGPRsForWavesPerEU: 4
; NumVGPRsForWavesPerEU: 1
; AccumOffset: 4
; Occupancy: 8
; WaveLimiterHint : 0
; COMPUTE_PGM_RSRC2:SCRATCH_EN: 0
; COMPUTE_PGM_RSRC2:USER_SGPR: 6
; COMPUTE_PGM_RSRC2:TRAP_HANDLER: 0
; COMPUTE_PGM_RSRC2:TGID_X_EN: 1
; COMPUTE_PGM_RSRC2:TGID_Y_EN: 0
; COMPUTE_PGM_RSRC2:TGID_Z_EN: 0
; COMPUTE_PGM_RSRC2:TIDIG_COMP_CNT: 0
; COMPUTE_PGM_RSRC3_GFX90A:ACCUM_OFFSET: 0
; COMPUTE_PGM_RSRC3_GFX90A:TG_SPLIT: 0
	.section	.text._ZN7rocprim17ROCPRIM_400000_NS6detail17trampoline_kernelINS0_14default_configENS1_22reduce_config_selectorIfEEZNS1_11reduce_implILb1ES3_PfS7_fN6thrust23THRUST_200600_302600_NS7maximumIfEEEE10hipError_tPvRmT1_T2_T3_mT4_P12ihipStream_tbEUlT_E0_NS1_11comp_targetILNS1_3genE10ELNS1_11target_archE1200ELNS1_3gpuE4ELNS1_3repE0EEENS1_30default_config_static_selectorELNS0_4arch9wavefront6targetE1EEEvSF_,"axG",@progbits,_ZN7rocprim17ROCPRIM_400000_NS6detail17trampoline_kernelINS0_14default_configENS1_22reduce_config_selectorIfEEZNS1_11reduce_implILb1ES3_PfS7_fN6thrust23THRUST_200600_302600_NS7maximumIfEEEE10hipError_tPvRmT1_T2_T3_mT4_P12ihipStream_tbEUlT_E0_NS1_11comp_targetILNS1_3genE10ELNS1_11target_archE1200ELNS1_3gpuE4ELNS1_3repE0EEENS1_30default_config_static_selectorELNS0_4arch9wavefront6targetE1EEEvSF_,comdat
	.protected	_ZN7rocprim17ROCPRIM_400000_NS6detail17trampoline_kernelINS0_14default_configENS1_22reduce_config_selectorIfEEZNS1_11reduce_implILb1ES3_PfS7_fN6thrust23THRUST_200600_302600_NS7maximumIfEEEE10hipError_tPvRmT1_T2_T3_mT4_P12ihipStream_tbEUlT_E0_NS1_11comp_targetILNS1_3genE10ELNS1_11target_archE1200ELNS1_3gpuE4ELNS1_3repE0EEENS1_30default_config_static_selectorELNS0_4arch9wavefront6targetE1EEEvSF_ ; -- Begin function _ZN7rocprim17ROCPRIM_400000_NS6detail17trampoline_kernelINS0_14default_configENS1_22reduce_config_selectorIfEEZNS1_11reduce_implILb1ES3_PfS7_fN6thrust23THRUST_200600_302600_NS7maximumIfEEEE10hipError_tPvRmT1_T2_T3_mT4_P12ihipStream_tbEUlT_E0_NS1_11comp_targetILNS1_3genE10ELNS1_11target_archE1200ELNS1_3gpuE4ELNS1_3repE0EEENS1_30default_config_static_selectorELNS0_4arch9wavefront6targetE1EEEvSF_
	.globl	_ZN7rocprim17ROCPRIM_400000_NS6detail17trampoline_kernelINS0_14default_configENS1_22reduce_config_selectorIfEEZNS1_11reduce_implILb1ES3_PfS7_fN6thrust23THRUST_200600_302600_NS7maximumIfEEEE10hipError_tPvRmT1_T2_T3_mT4_P12ihipStream_tbEUlT_E0_NS1_11comp_targetILNS1_3genE10ELNS1_11target_archE1200ELNS1_3gpuE4ELNS1_3repE0EEENS1_30default_config_static_selectorELNS0_4arch9wavefront6targetE1EEEvSF_
	.p2align	8
	.type	_ZN7rocprim17ROCPRIM_400000_NS6detail17trampoline_kernelINS0_14default_configENS1_22reduce_config_selectorIfEEZNS1_11reduce_implILb1ES3_PfS7_fN6thrust23THRUST_200600_302600_NS7maximumIfEEEE10hipError_tPvRmT1_T2_T3_mT4_P12ihipStream_tbEUlT_E0_NS1_11comp_targetILNS1_3genE10ELNS1_11target_archE1200ELNS1_3gpuE4ELNS1_3repE0EEENS1_30default_config_static_selectorELNS0_4arch9wavefront6targetE1EEEvSF_,@function
_ZN7rocprim17ROCPRIM_400000_NS6detail17trampoline_kernelINS0_14default_configENS1_22reduce_config_selectorIfEEZNS1_11reduce_implILb1ES3_PfS7_fN6thrust23THRUST_200600_302600_NS7maximumIfEEEE10hipError_tPvRmT1_T2_T3_mT4_P12ihipStream_tbEUlT_E0_NS1_11comp_targetILNS1_3genE10ELNS1_11target_archE1200ELNS1_3gpuE4ELNS1_3repE0EEENS1_30default_config_static_selectorELNS0_4arch9wavefront6targetE1EEEvSF_: ; @_ZN7rocprim17ROCPRIM_400000_NS6detail17trampoline_kernelINS0_14default_configENS1_22reduce_config_selectorIfEEZNS1_11reduce_implILb1ES3_PfS7_fN6thrust23THRUST_200600_302600_NS7maximumIfEEEE10hipError_tPvRmT1_T2_T3_mT4_P12ihipStream_tbEUlT_E0_NS1_11comp_targetILNS1_3genE10ELNS1_11target_archE1200ELNS1_3gpuE4ELNS1_3repE0EEENS1_30default_config_static_selectorELNS0_4arch9wavefront6targetE1EEEvSF_
; %bb.0:
	.section	.rodata,"a",@progbits
	.p2align	6, 0x0
	.amdhsa_kernel _ZN7rocprim17ROCPRIM_400000_NS6detail17trampoline_kernelINS0_14default_configENS1_22reduce_config_selectorIfEEZNS1_11reduce_implILb1ES3_PfS7_fN6thrust23THRUST_200600_302600_NS7maximumIfEEEE10hipError_tPvRmT1_T2_T3_mT4_P12ihipStream_tbEUlT_E0_NS1_11comp_targetILNS1_3genE10ELNS1_11target_archE1200ELNS1_3gpuE4ELNS1_3repE0EEENS1_30default_config_static_selectorELNS0_4arch9wavefront6targetE1EEEvSF_
		.amdhsa_group_segment_fixed_size 0
		.amdhsa_private_segment_fixed_size 0
		.amdhsa_kernarg_size 56
		.amdhsa_user_sgpr_count 6
		.amdhsa_user_sgpr_private_segment_buffer 1
		.amdhsa_user_sgpr_dispatch_ptr 0
		.amdhsa_user_sgpr_queue_ptr 0
		.amdhsa_user_sgpr_kernarg_segment_ptr 1
		.amdhsa_user_sgpr_dispatch_id 0
		.amdhsa_user_sgpr_flat_scratch_init 0
		.amdhsa_user_sgpr_kernarg_preload_length 0
		.amdhsa_user_sgpr_kernarg_preload_offset 0
		.amdhsa_user_sgpr_private_segment_size 0
		.amdhsa_uses_dynamic_stack 0
		.amdhsa_system_sgpr_private_segment_wavefront_offset 0
		.amdhsa_system_sgpr_workgroup_id_x 1
		.amdhsa_system_sgpr_workgroup_id_y 0
		.amdhsa_system_sgpr_workgroup_id_z 0
		.amdhsa_system_sgpr_workgroup_info 0
		.amdhsa_system_vgpr_workitem_id 0
		.amdhsa_next_free_vgpr 1
		.amdhsa_next_free_sgpr 0
		.amdhsa_accum_offset 4
		.amdhsa_reserve_vcc 0
		.amdhsa_reserve_flat_scratch 0
		.amdhsa_float_round_mode_32 0
		.amdhsa_float_round_mode_16_64 0
		.amdhsa_float_denorm_mode_32 3
		.amdhsa_float_denorm_mode_16_64 3
		.amdhsa_dx10_clamp 1
		.amdhsa_ieee_mode 1
		.amdhsa_fp16_overflow 0
		.amdhsa_tg_split 0
		.amdhsa_exception_fp_ieee_invalid_op 0
		.amdhsa_exception_fp_denorm_src 0
		.amdhsa_exception_fp_ieee_div_zero 0
		.amdhsa_exception_fp_ieee_overflow 0
		.amdhsa_exception_fp_ieee_underflow 0
		.amdhsa_exception_fp_ieee_inexact 0
		.amdhsa_exception_int_div_zero 0
	.end_amdhsa_kernel
	.section	.text._ZN7rocprim17ROCPRIM_400000_NS6detail17trampoline_kernelINS0_14default_configENS1_22reduce_config_selectorIfEEZNS1_11reduce_implILb1ES3_PfS7_fN6thrust23THRUST_200600_302600_NS7maximumIfEEEE10hipError_tPvRmT1_T2_T3_mT4_P12ihipStream_tbEUlT_E0_NS1_11comp_targetILNS1_3genE10ELNS1_11target_archE1200ELNS1_3gpuE4ELNS1_3repE0EEENS1_30default_config_static_selectorELNS0_4arch9wavefront6targetE1EEEvSF_,"axG",@progbits,_ZN7rocprim17ROCPRIM_400000_NS6detail17trampoline_kernelINS0_14default_configENS1_22reduce_config_selectorIfEEZNS1_11reduce_implILb1ES3_PfS7_fN6thrust23THRUST_200600_302600_NS7maximumIfEEEE10hipError_tPvRmT1_T2_T3_mT4_P12ihipStream_tbEUlT_E0_NS1_11comp_targetILNS1_3genE10ELNS1_11target_archE1200ELNS1_3gpuE4ELNS1_3repE0EEENS1_30default_config_static_selectorELNS0_4arch9wavefront6targetE1EEEvSF_,comdat
.Lfunc_end7:
	.size	_ZN7rocprim17ROCPRIM_400000_NS6detail17trampoline_kernelINS0_14default_configENS1_22reduce_config_selectorIfEEZNS1_11reduce_implILb1ES3_PfS7_fN6thrust23THRUST_200600_302600_NS7maximumIfEEEE10hipError_tPvRmT1_T2_T3_mT4_P12ihipStream_tbEUlT_E0_NS1_11comp_targetILNS1_3genE10ELNS1_11target_archE1200ELNS1_3gpuE4ELNS1_3repE0EEENS1_30default_config_static_selectorELNS0_4arch9wavefront6targetE1EEEvSF_, .Lfunc_end7-_ZN7rocprim17ROCPRIM_400000_NS6detail17trampoline_kernelINS0_14default_configENS1_22reduce_config_selectorIfEEZNS1_11reduce_implILb1ES3_PfS7_fN6thrust23THRUST_200600_302600_NS7maximumIfEEEE10hipError_tPvRmT1_T2_T3_mT4_P12ihipStream_tbEUlT_E0_NS1_11comp_targetILNS1_3genE10ELNS1_11target_archE1200ELNS1_3gpuE4ELNS1_3repE0EEENS1_30default_config_static_selectorELNS0_4arch9wavefront6targetE1EEEvSF_
                                        ; -- End function
	.section	.AMDGPU.csdata,"",@progbits
; Kernel info:
; codeLenInByte = 0
; NumSgprs: 4
; NumVgprs: 0
; NumAgprs: 0
; TotalNumVgprs: 0
; ScratchSize: 0
; MemoryBound: 0
; FloatMode: 240
; IeeeMode: 1
; LDSByteSize: 0 bytes/workgroup (compile time only)
; SGPRBlocks: 0
; VGPRBlocks: 0
; NumSGPRsForWavesPerEU: 4
; NumVGPRsForWavesPerEU: 1
; AccumOffset: 4
; Occupancy: 8
; WaveLimiterHint : 0
; COMPUTE_PGM_RSRC2:SCRATCH_EN: 0
; COMPUTE_PGM_RSRC2:USER_SGPR: 6
; COMPUTE_PGM_RSRC2:TRAP_HANDLER: 0
; COMPUTE_PGM_RSRC2:TGID_X_EN: 1
; COMPUTE_PGM_RSRC2:TGID_Y_EN: 0
; COMPUTE_PGM_RSRC2:TGID_Z_EN: 0
; COMPUTE_PGM_RSRC2:TIDIG_COMP_CNT: 0
; COMPUTE_PGM_RSRC3_GFX90A:ACCUM_OFFSET: 0
; COMPUTE_PGM_RSRC3_GFX90A:TG_SPLIT: 0
	.section	.text._ZN7rocprim17ROCPRIM_400000_NS6detail17trampoline_kernelINS0_14default_configENS1_22reduce_config_selectorIfEEZNS1_11reduce_implILb1ES3_PfS7_fN6thrust23THRUST_200600_302600_NS7maximumIfEEEE10hipError_tPvRmT1_T2_T3_mT4_P12ihipStream_tbEUlT_E0_NS1_11comp_targetILNS1_3genE9ELNS1_11target_archE1100ELNS1_3gpuE3ELNS1_3repE0EEENS1_30default_config_static_selectorELNS0_4arch9wavefront6targetE1EEEvSF_,"axG",@progbits,_ZN7rocprim17ROCPRIM_400000_NS6detail17trampoline_kernelINS0_14default_configENS1_22reduce_config_selectorIfEEZNS1_11reduce_implILb1ES3_PfS7_fN6thrust23THRUST_200600_302600_NS7maximumIfEEEE10hipError_tPvRmT1_T2_T3_mT4_P12ihipStream_tbEUlT_E0_NS1_11comp_targetILNS1_3genE9ELNS1_11target_archE1100ELNS1_3gpuE3ELNS1_3repE0EEENS1_30default_config_static_selectorELNS0_4arch9wavefront6targetE1EEEvSF_,comdat
	.protected	_ZN7rocprim17ROCPRIM_400000_NS6detail17trampoline_kernelINS0_14default_configENS1_22reduce_config_selectorIfEEZNS1_11reduce_implILb1ES3_PfS7_fN6thrust23THRUST_200600_302600_NS7maximumIfEEEE10hipError_tPvRmT1_T2_T3_mT4_P12ihipStream_tbEUlT_E0_NS1_11comp_targetILNS1_3genE9ELNS1_11target_archE1100ELNS1_3gpuE3ELNS1_3repE0EEENS1_30default_config_static_selectorELNS0_4arch9wavefront6targetE1EEEvSF_ ; -- Begin function _ZN7rocprim17ROCPRIM_400000_NS6detail17trampoline_kernelINS0_14default_configENS1_22reduce_config_selectorIfEEZNS1_11reduce_implILb1ES3_PfS7_fN6thrust23THRUST_200600_302600_NS7maximumIfEEEE10hipError_tPvRmT1_T2_T3_mT4_P12ihipStream_tbEUlT_E0_NS1_11comp_targetILNS1_3genE9ELNS1_11target_archE1100ELNS1_3gpuE3ELNS1_3repE0EEENS1_30default_config_static_selectorELNS0_4arch9wavefront6targetE1EEEvSF_
	.globl	_ZN7rocprim17ROCPRIM_400000_NS6detail17trampoline_kernelINS0_14default_configENS1_22reduce_config_selectorIfEEZNS1_11reduce_implILb1ES3_PfS7_fN6thrust23THRUST_200600_302600_NS7maximumIfEEEE10hipError_tPvRmT1_T2_T3_mT4_P12ihipStream_tbEUlT_E0_NS1_11comp_targetILNS1_3genE9ELNS1_11target_archE1100ELNS1_3gpuE3ELNS1_3repE0EEENS1_30default_config_static_selectorELNS0_4arch9wavefront6targetE1EEEvSF_
	.p2align	8
	.type	_ZN7rocprim17ROCPRIM_400000_NS6detail17trampoline_kernelINS0_14default_configENS1_22reduce_config_selectorIfEEZNS1_11reduce_implILb1ES3_PfS7_fN6thrust23THRUST_200600_302600_NS7maximumIfEEEE10hipError_tPvRmT1_T2_T3_mT4_P12ihipStream_tbEUlT_E0_NS1_11comp_targetILNS1_3genE9ELNS1_11target_archE1100ELNS1_3gpuE3ELNS1_3repE0EEENS1_30default_config_static_selectorELNS0_4arch9wavefront6targetE1EEEvSF_,@function
_ZN7rocprim17ROCPRIM_400000_NS6detail17trampoline_kernelINS0_14default_configENS1_22reduce_config_selectorIfEEZNS1_11reduce_implILb1ES3_PfS7_fN6thrust23THRUST_200600_302600_NS7maximumIfEEEE10hipError_tPvRmT1_T2_T3_mT4_P12ihipStream_tbEUlT_E0_NS1_11comp_targetILNS1_3genE9ELNS1_11target_archE1100ELNS1_3gpuE3ELNS1_3repE0EEENS1_30default_config_static_selectorELNS0_4arch9wavefront6targetE1EEEvSF_: ; @_ZN7rocprim17ROCPRIM_400000_NS6detail17trampoline_kernelINS0_14default_configENS1_22reduce_config_selectorIfEEZNS1_11reduce_implILb1ES3_PfS7_fN6thrust23THRUST_200600_302600_NS7maximumIfEEEE10hipError_tPvRmT1_T2_T3_mT4_P12ihipStream_tbEUlT_E0_NS1_11comp_targetILNS1_3genE9ELNS1_11target_archE1100ELNS1_3gpuE3ELNS1_3repE0EEENS1_30default_config_static_selectorELNS0_4arch9wavefront6targetE1EEEvSF_
; %bb.0:
	.section	.rodata,"a",@progbits
	.p2align	6, 0x0
	.amdhsa_kernel _ZN7rocprim17ROCPRIM_400000_NS6detail17trampoline_kernelINS0_14default_configENS1_22reduce_config_selectorIfEEZNS1_11reduce_implILb1ES3_PfS7_fN6thrust23THRUST_200600_302600_NS7maximumIfEEEE10hipError_tPvRmT1_T2_T3_mT4_P12ihipStream_tbEUlT_E0_NS1_11comp_targetILNS1_3genE9ELNS1_11target_archE1100ELNS1_3gpuE3ELNS1_3repE0EEENS1_30default_config_static_selectorELNS0_4arch9wavefront6targetE1EEEvSF_
		.amdhsa_group_segment_fixed_size 0
		.amdhsa_private_segment_fixed_size 0
		.amdhsa_kernarg_size 56
		.amdhsa_user_sgpr_count 6
		.amdhsa_user_sgpr_private_segment_buffer 1
		.amdhsa_user_sgpr_dispatch_ptr 0
		.amdhsa_user_sgpr_queue_ptr 0
		.amdhsa_user_sgpr_kernarg_segment_ptr 1
		.amdhsa_user_sgpr_dispatch_id 0
		.amdhsa_user_sgpr_flat_scratch_init 0
		.amdhsa_user_sgpr_kernarg_preload_length 0
		.amdhsa_user_sgpr_kernarg_preload_offset 0
		.amdhsa_user_sgpr_private_segment_size 0
		.amdhsa_uses_dynamic_stack 0
		.amdhsa_system_sgpr_private_segment_wavefront_offset 0
		.amdhsa_system_sgpr_workgroup_id_x 1
		.amdhsa_system_sgpr_workgroup_id_y 0
		.amdhsa_system_sgpr_workgroup_id_z 0
		.amdhsa_system_sgpr_workgroup_info 0
		.amdhsa_system_vgpr_workitem_id 0
		.amdhsa_next_free_vgpr 1
		.amdhsa_next_free_sgpr 0
		.amdhsa_accum_offset 4
		.amdhsa_reserve_vcc 0
		.amdhsa_reserve_flat_scratch 0
		.amdhsa_float_round_mode_32 0
		.amdhsa_float_round_mode_16_64 0
		.amdhsa_float_denorm_mode_32 3
		.amdhsa_float_denorm_mode_16_64 3
		.amdhsa_dx10_clamp 1
		.amdhsa_ieee_mode 1
		.amdhsa_fp16_overflow 0
		.amdhsa_tg_split 0
		.amdhsa_exception_fp_ieee_invalid_op 0
		.amdhsa_exception_fp_denorm_src 0
		.amdhsa_exception_fp_ieee_div_zero 0
		.amdhsa_exception_fp_ieee_overflow 0
		.amdhsa_exception_fp_ieee_underflow 0
		.amdhsa_exception_fp_ieee_inexact 0
		.amdhsa_exception_int_div_zero 0
	.end_amdhsa_kernel
	.section	.text._ZN7rocprim17ROCPRIM_400000_NS6detail17trampoline_kernelINS0_14default_configENS1_22reduce_config_selectorIfEEZNS1_11reduce_implILb1ES3_PfS7_fN6thrust23THRUST_200600_302600_NS7maximumIfEEEE10hipError_tPvRmT1_T2_T3_mT4_P12ihipStream_tbEUlT_E0_NS1_11comp_targetILNS1_3genE9ELNS1_11target_archE1100ELNS1_3gpuE3ELNS1_3repE0EEENS1_30default_config_static_selectorELNS0_4arch9wavefront6targetE1EEEvSF_,"axG",@progbits,_ZN7rocprim17ROCPRIM_400000_NS6detail17trampoline_kernelINS0_14default_configENS1_22reduce_config_selectorIfEEZNS1_11reduce_implILb1ES3_PfS7_fN6thrust23THRUST_200600_302600_NS7maximumIfEEEE10hipError_tPvRmT1_T2_T3_mT4_P12ihipStream_tbEUlT_E0_NS1_11comp_targetILNS1_3genE9ELNS1_11target_archE1100ELNS1_3gpuE3ELNS1_3repE0EEENS1_30default_config_static_selectorELNS0_4arch9wavefront6targetE1EEEvSF_,comdat
.Lfunc_end8:
	.size	_ZN7rocprim17ROCPRIM_400000_NS6detail17trampoline_kernelINS0_14default_configENS1_22reduce_config_selectorIfEEZNS1_11reduce_implILb1ES3_PfS7_fN6thrust23THRUST_200600_302600_NS7maximumIfEEEE10hipError_tPvRmT1_T2_T3_mT4_P12ihipStream_tbEUlT_E0_NS1_11comp_targetILNS1_3genE9ELNS1_11target_archE1100ELNS1_3gpuE3ELNS1_3repE0EEENS1_30default_config_static_selectorELNS0_4arch9wavefront6targetE1EEEvSF_, .Lfunc_end8-_ZN7rocprim17ROCPRIM_400000_NS6detail17trampoline_kernelINS0_14default_configENS1_22reduce_config_selectorIfEEZNS1_11reduce_implILb1ES3_PfS7_fN6thrust23THRUST_200600_302600_NS7maximumIfEEEE10hipError_tPvRmT1_T2_T3_mT4_P12ihipStream_tbEUlT_E0_NS1_11comp_targetILNS1_3genE9ELNS1_11target_archE1100ELNS1_3gpuE3ELNS1_3repE0EEENS1_30default_config_static_selectorELNS0_4arch9wavefront6targetE1EEEvSF_
                                        ; -- End function
	.section	.AMDGPU.csdata,"",@progbits
; Kernel info:
; codeLenInByte = 0
; NumSgprs: 4
; NumVgprs: 0
; NumAgprs: 0
; TotalNumVgprs: 0
; ScratchSize: 0
; MemoryBound: 0
; FloatMode: 240
; IeeeMode: 1
; LDSByteSize: 0 bytes/workgroup (compile time only)
; SGPRBlocks: 0
; VGPRBlocks: 0
; NumSGPRsForWavesPerEU: 4
; NumVGPRsForWavesPerEU: 1
; AccumOffset: 4
; Occupancy: 8
; WaveLimiterHint : 0
; COMPUTE_PGM_RSRC2:SCRATCH_EN: 0
; COMPUTE_PGM_RSRC2:USER_SGPR: 6
; COMPUTE_PGM_RSRC2:TRAP_HANDLER: 0
; COMPUTE_PGM_RSRC2:TGID_X_EN: 1
; COMPUTE_PGM_RSRC2:TGID_Y_EN: 0
; COMPUTE_PGM_RSRC2:TGID_Z_EN: 0
; COMPUTE_PGM_RSRC2:TIDIG_COMP_CNT: 0
; COMPUTE_PGM_RSRC3_GFX90A:ACCUM_OFFSET: 0
; COMPUTE_PGM_RSRC3_GFX90A:TG_SPLIT: 0
	.section	.text._ZN7rocprim17ROCPRIM_400000_NS6detail17trampoline_kernelINS0_14default_configENS1_22reduce_config_selectorIfEEZNS1_11reduce_implILb1ES3_PfS7_fN6thrust23THRUST_200600_302600_NS7maximumIfEEEE10hipError_tPvRmT1_T2_T3_mT4_P12ihipStream_tbEUlT_E0_NS1_11comp_targetILNS1_3genE8ELNS1_11target_archE1030ELNS1_3gpuE2ELNS1_3repE0EEENS1_30default_config_static_selectorELNS0_4arch9wavefront6targetE1EEEvSF_,"axG",@progbits,_ZN7rocprim17ROCPRIM_400000_NS6detail17trampoline_kernelINS0_14default_configENS1_22reduce_config_selectorIfEEZNS1_11reduce_implILb1ES3_PfS7_fN6thrust23THRUST_200600_302600_NS7maximumIfEEEE10hipError_tPvRmT1_T2_T3_mT4_P12ihipStream_tbEUlT_E0_NS1_11comp_targetILNS1_3genE8ELNS1_11target_archE1030ELNS1_3gpuE2ELNS1_3repE0EEENS1_30default_config_static_selectorELNS0_4arch9wavefront6targetE1EEEvSF_,comdat
	.protected	_ZN7rocprim17ROCPRIM_400000_NS6detail17trampoline_kernelINS0_14default_configENS1_22reduce_config_selectorIfEEZNS1_11reduce_implILb1ES3_PfS7_fN6thrust23THRUST_200600_302600_NS7maximumIfEEEE10hipError_tPvRmT1_T2_T3_mT4_P12ihipStream_tbEUlT_E0_NS1_11comp_targetILNS1_3genE8ELNS1_11target_archE1030ELNS1_3gpuE2ELNS1_3repE0EEENS1_30default_config_static_selectorELNS0_4arch9wavefront6targetE1EEEvSF_ ; -- Begin function _ZN7rocprim17ROCPRIM_400000_NS6detail17trampoline_kernelINS0_14default_configENS1_22reduce_config_selectorIfEEZNS1_11reduce_implILb1ES3_PfS7_fN6thrust23THRUST_200600_302600_NS7maximumIfEEEE10hipError_tPvRmT1_T2_T3_mT4_P12ihipStream_tbEUlT_E0_NS1_11comp_targetILNS1_3genE8ELNS1_11target_archE1030ELNS1_3gpuE2ELNS1_3repE0EEENS1_30default_config_static_selectorELNS0_4arch9wavefront6targetE1EEEvSF_
	.globl	_ZN7rocprim17ROCPRIM_400000_NS6detail17trampoline_kernelINS0_14default_configENS1_22reduce_config_selectorIfEEZNS1_11reduce_implILb1ES3_PfS7_fN6thrust23THRUST_200600_302600_NS7maximumIfEEEE10hipError_tPvRmT1_T2_T3_mT4_P12ihipStream_tbEUlT_E0_NS1_11comp_targetILNS1_3genE8ELNS1_11target_archE1030ELNS1_3gpuE2ELNS1_3repE0EEENS1_30default_config_static_selectorELNS0_4arch9wavefront6targetE1EEEvSF_
	.p2align	8
	.type	_ZN7rocprim17ROCPRIM_400000_NS6detail17trampoline_kernelINS0_14default_configENS1_22reduce_config_selectorIfEEZNS1_11reduce_implILb1ES3_PfS7_fN6thrust23THRUST_200600_302600_NS7maximumIfEEEE10hipError_tPvRmT1_T2_T3_mT4_P12ihipStream_tbEUlT_E0_NS1_11comp_targetILNS1_3genE8ELNS1_11target_archE1030ELNS1_3gpuE2ELNS1_3repE0EEENS1_30default_config_static_selectorELNS0_4arch9wavefront6targetE1EEEvSF_,@function
_ZN7rocprim17ROCPRIM_400000_NS6detail17trampoline_kernelINS0_14default_configENS1_22reduce_config_selectorIfEEZNS1_11reduce_implILb1ES3_PfS7_fN6thrust23THRUST_200600_302600_NS7maximumIfEEEE10hipError_tPvRmT1_T2_T3_mT4_P12ihipStream_tbEUlT_E0_NS1_11comp_targetILNS1_3genE8ELNS1_11target_archE1030ELNS1_3gpuE2ELNS1_3repE0EEENS1_30default_config_static_selectorELNS0_4arch9wavefront6targetE1EEEvSF_: ; @_ZN7rocprim17ROCPRIM_400000_NS6detail17trampoline_kernelINS0_14default_configENS1_22reduce_config_selectorIfEEZNS1_11reduce_implILb1ES3_PfS7_fN6thrust23THRUST_200600_302600_NS7maximumIfEEEE10hipError_tPvRmT1_T2_T3_mT4_P12ihipStream_tbEUlT_E0_NS1_11comp_targetILNS1_3genE8ELNS1_11target_archE1030ELNS1_3gpuE2ELNS1_3repE0EEENS1_30default_config_static_selectorELNS0_4arch9wavefront6targetE1EEEvSF_
; %bb.0:
	.section	.rodata,"a",@progbits
	.p2align	6, 0x0
	.amdhsa_kernel _ZN7rocprim17ROCPRIM_400000_NS6detail17trampoline_kernelINS0_14default_configENS1_22reduce_config_selectorIfEEZNS1_11reduce_implILb1ES3_PfS7_fN6thrust23THRUST_200600_302600_NS7maximumIfEEEE10hipError_tPvRmT1_T2_T3_mT4_P12ihipStream_tbEUlT_E0_NS1_11comp_targetILNS1_3genE8ELNS1_11target_archE1030ELNS1_3gpuE2ELNS1_3repE0EEENS1_30default_config_static_selectorELNS0_4arch9wavefront6targetE1EEEvSF_
		.amdhsa_group_segment_fixed_size 0
		.amdhsa_private_segment_fixed_size 0
		.amdhsa_kernarg_size 56
		.amdhsa_user_sgpr_count 6
		.amdhsa_user_sgpr_private_segment_buffer 1
		.amdhsa_user_sgpr_dispatch_ptr 0
		.amdhsa_user_sgpr_queue_ptr 0
		.amdhsa_user_sgpr_kernarg_segment_ptr 1
		.amdhsa_user_sgpr_dispatch_id 0
		.amdhsa_user_sgpr_flat_scratch_init 0
		.amdhsa_user_sgpr_kernarg_preload_length 0
		.amdhsa_user_sgpr_kernarg_preload_offset 0
		.amdhsa_user_sgpr_private_segment_size 0
		.amdhsa_uses_dynamic_stack 0
		.amdhsa_system_sgpr_private_segment_wavefront_offset 0
		.amdhsa_system_sgpr_workgroup_id_x 1
		.amdhsa_system_sgpr_workgroup_id_y 0
		.amdhsa_system_sgpr_workgroup_id_z 0
		.amdhsa_system_sgpr_workgroup_info 0
		.amdhsa_system_vgpr_workitem_id 0
		.amdhsa_next_free_vgpr 1
		.amdhsa_next_free_sgpr 0
		.amdhsa_accum_offset 4
		.amdhsa_reserve_vcc 0
		.amdhsa_reserve_flat_scratch 0
		.amdhsa_float_round_mode_32 0
		.amdhsa_float_round_mode_16_64 0
		.amdhsa_float_denorm_mode_32 3
		.amdhsa_float_denorm_mode_16_64 3
		.amdhsa_dx10_clamp 1
		.amdhsa_ieee_mode 1
		.amdhsa_fp16_overflow 0
		.amdhsa_tg_split 0
		.amdhsa_exception_fp_ieee_invalid_op 0
		.amdhsa_exception_fp_denorm_src 0
		.amdhsa_exception_fp_ieee_div_zero 0
		.amdhsa_exception_fp_ieee_overflow 0
		.amdhsa_exception_fp_ieee_underflow 0
		.amdhsa_exception_fp_ieee_inexact 0
		.amdhsa_exception_int_div_zero 0
	.end_amdhsa_kernel
	.section	.text._ZN7rocprim17ROCPRIM_400000_NS6detail17trampoline_kernelINS0_14default_configENS1_22reduce_config_selectorIfEEZNS1_11reduce_implILb1ES3_PfS7_fN6thrust23THRUST_200600_302600_NS7maximumIfEEEE10hipError_tPvRmT1_T2_T3_mT4_P12ihipStream_tbEUlT_E0_NS1_11comp_targetILNS1_3genE8ELNS1_11target_archE1030ELNS1_3gpuE2ELNS1_3repE0EEENS1_30default_config_static_selectorELNS0_4arch9wavefront6targetE1EEEvSF_,"axG",@progbits,_ZN7rocprim17ROCPRIM_400000_NS6detail17trampoline_kernelINS0_14default_configENS1_22reduce_config_selectorIfEEZNS1_11reduce_implILb1ES3_PfS7_fN6thrust23THRUST_200600_302600_NS7maximumIfEEEE10hipError_tPvRmT1_T2_T3_mT4_P12ihipStream_tbEUlT_E0_NS1_11comp_targetILNS1_3genE8ELNS1_11target_archE1030ELNS1_3gpuE2ELNS1_3repE0EEENS1_30default_config_static_selectorELNS0_4arch9wavefront6targetE1EEEvSF_,comdat
.Lfunc_end9:
	.size	_ZN7rocprim17ROCPRIM_400000_NS6detail17trampoline_kernelINS0_14default_configENS1_22reduce_config_selectorIfEEZNS1_11reduce_implILb1ES3_PfS7_fN6thrust23THRUST_200600_302600_NS7maximumIfEEEE10hipError_tPvRmT1_T2_T3_mT4_P12ihipStream_tbEUlT_E0_NS1_11comp_targetILNS1_3genE8ELNS1_11target_archE1030ELNS1_3gpuE2ELNS1_3repE0EEENS1_30default_config_static_selectorELNS0_4arch9wavefront6targetE1EEEvSF_, .Lfunc_end9-_ZN7rocprim17ROCPRIM_400000_NS6detail17trampoline_kernelINS0_14default_configENS1_22reduce_config_selectorIfEEZNS1_11reduce_implILb1ES3_PfS7_fN6thrust23THRUST_200600_302600_NS7maximumIfEEEE10hipError_tPvRmT1_T2_T3_mT4_P12ihipStream_tbEUlT_E0_NS1_11comp_targetILNS1_3genE8ELNS1_11target_archE1030ELNS1_3gpuE2ELNS1_3repE0EEENS1_30default_config_static_selectorELNS0_4arch9wavefront6targetE1EEEvSF_
                                        ; -- End function
	.section	.AMDGPU.csdata,"",@progbits
; Kernel info:
; codeLenInByte = 0
; NumSgprs: 4
; NumVgprs: 0
; NumAgprs: 0
; TotalNumVgprs: 0
; ScratchSize: 0
; MemoryBound: 0
; FloatMode: 240
; IeeeMode: 1
; LDSByteSize: 0 bytes/workgroup (compile time only)
; SGPRBlocks: 0
; VGPRBlocks: 0
; NumSGPRsForWavesPerEU: 4
; NumVGPRsForWavesPerEU: 1
; AccumOffset: 4
; Occupancy: 8
; WaveLimiterHint : 0
; COMPUTE_PGM_RSRC2:SCRATCH_EN: 0
; COMPUTE_PGM_RSRC2:USER_SGPR: 6
; COMPUTE_PGM_RSRC2:TRAP_HANDLER: 0
; COMPUTE_PGM_RSRC2:TGID_X_EN: 1
; COMPUTE_PGM_RSRC2:TGID_Y_EN: 0
; COMPUTE_PGM_RSRC2:TGID_Z_EN: 0
; COMPUTE_PGM_RSRC2:TIDIG_COMP_CNT: 0
; COMPUTE_PGM_RSRC3_GFX90A:ACCUM_OFFSET: 0
; COMPUTE_PGM_RSRC3_GFX90A:TG_SPLIT: 0
	.section	.text._ZN7rocprim17ROCPRIM_400000_NS6detail17trampoline_kernelINS0_14default_configENS1_22reduce_config_selectorIfEEZNS1_11reduce_implILb1ES3_PfS7_fN6thrust23THRUST_200600_302600_NS7maximumIfEEEE10hipError_tPvRmT1_T2_T3_mT4_P12ihipStream_tbEUlT_E1_NS1_11comp_targetILNS1_3genE0ELNS1_11target_archE4294967295ELNS1_3gpuE0ELNS1_3repE0EEENS1_30default_config_static_selectorELNS0_4arch9wavefront6targetE1EEEvSF_,"axG",@progbits,_ZN7rocprim17ROCPRIM_400000_NS6detail17trampoline_kernelINS0_14default_configENS1_22reduce_config_selectorIfEEZNS1_11reduce_implILb1ES3_PfS7_fN6thrust23THRUST_200600_302600_NS7maximumIfEEEE10hipError_tPvRmT1_T2_T3_mT4_P12ihipStream_tbEUlT_E1_NS1_11comp_targetILNS1_3genE0ELNS1_11target_archE4294967295ELNS1_3gpuE0ELNS1_3repE0EEENS1_30default_config_static_selectorELNS0_4arch9wavefront6targetE1EEEvSF_,comdat
	.protected	_ZN7rocprim17ROCPRIM_400000_NS6detail17trampoline_kernelINS0_14default_configENS1_22reduce_config_selectorIfEEZNS1_11reduce_implILb1ES3_PfS7_fN6thrust23THRUST_200600_302600_NS7maximumIfEEEE10hipError_tPvRmT1_T2_T3_mT4_P12ihipStream_tbEUlT_E1_NS1_11comp_targetILNS1_3genE0ELNS1_11target_archE4294967295ELNS1_3gpuE0ELNS1_3repE0EEENS1_30default_config_static_selectorELNS0_4arch9wavefront6targetE1EEEvSF_ ; -- Begin function _ZN7rocprim17ROCPRIM_400000_NS6detail17trampoline_kernelINS0_14default_configENS1_22reduce_config_selectorIfEEZNS1_11reduce_implILb1ES3_PfS7_fN6thrust23THRUST_200600_302600_NS7maximumIfEEEE10hipError_tPvRmT1_T2_T3_mT4_P12ihipStream_tbEUlT_E1_NS1_11comp_targetILNS1_3genE0ELNS1_11target_archE4294967295ELNS1_3gpuE0ELNS1_3repE0EEENS1_30default_config_static_selectorELNS0_4arch9wavefront6targetE1EEEvSF_
	.globl	_ZN7rocprim17ROCPRIM_400000_NS6detail17trampoline_kernelINS0_14default_configENS1_22reduce_config_selectorIfEEZNS1_11reduce_implILb1ES3_PfS7_fN6thrust23THRUST_200600_302600_NS7maximumIfEEEE10hipError_tPvRmT1_T2_T3_mT4_P12ihipStream_tbEUlT_E1_NS1_11comp_targetILNS1_3genE0ELNS1_11target_archE4294967295ELNS1_3gpuE0ELNS1_3repE0EEENS1_30default_config_static_selectorELNS0_4arch9wavefront6targetE1EEEvSF_
	.p2align	8
	.type	_ZN7rocprim17ROCPRIM_400000_NS6detail17trampoline_kernelINS0_14default_configENS1_22reduce_config_selectorIfEEZNS1_11reduce_implILb1ES3_PfS7_fN6thrust23THRUST_200600_302600_NS7maximumIfEEEE10hipError_tPvRmT1_T2_T3_mT4_P12ihipStream_tbEUlT_E1_NS1_11comp_targetILNS1_3genE0ELNS1_11target_archE4294967295ELNS1_3gpuE0ELNS1_3repE0EEENS1_30default_config_static_selectorELNS0_4arch9wavefront6targetE1EEEvSF_,@function
_ZN7rocprim17ROCPRIM_400000_NS6detail17trampoline_kernelINS0_14default_configENS1_22reduce_config_selectorIfEEZNS1_11reduce_implILb1ES3_PfS7_fN6thrust23THRUST_200600_302600_NS7maximumIfEEEE10hipError_tPvRmT1_T2_T3_mT4_P12ihipStream_tbEUlT_E1_NS1_11comp_targetILNS1_3genE0ELNS1_11target_archE4294967295ELNS1_3gpuE0ELNS1_3repE0EEENS1_30default_config_static_selectorELNS0_4arch9wavefront6targetE1EEEvSF_: ; @_ZN7rocprim17ROCPRIM_400000_NS6detail17trampoline_kernelINS0_14default_configENS1_22reduce_config_selectorIfEEZNS1_11reduce_implILb1ES3_PfS7_fN6thrust23THRUST_200600_302600_NS7maximumIfEEEE10hipError_tPvRmT1_T2_T3_mT4_P12ihipStream_tbEUlT_E1_NS1_11comp_targetILNS1_3genE0ELNS1_11target_archE4294967295ELNS1_3gpuE0ELNS1_3repE0EEENS1_30default_config_static_selectorELNS0_4arch9wavefront6targetE1EEEvSF_
; %bb.0:
	.section	.rodata,"a",@progbits
	.p2align	6, 0x0
	.amdhsa_kernel _ZN7rocprim17ROCPRIM_400000_NS6detail17trampoline_kernelINS0_14default_configENS1_22reduce_config_selectorIfEEZNS1_11reduce_implILb1ES3_PfS7_fN6thrust23THRUST_200600_302600_NS7maximumIfEEEE10hipError_tPvRmT1_T2_T3_mT4_P12ihipStream_tbEUlT_E1_NS1_11comp_targetILNS1_3genE0ELNS1_11target_archE4294967295ELNS1_3gpuE0ELNS1_3repE0EEENS1_30default_config_static_selectorELNS0_4arch9wavefront6targetE1EEEvSF_
		.amdhsa_group_segment_fixed_size 0
		.amdhsa_private_segment_fixed_size 0
		.amdhsa_kernarg_size 40
		.amdhsa_user_sgpr_count 6
		.amdhsa_user_sgpr_private_segment_buffer 1
		.amdhsa_user_sgpr_dispatch_ptr 0
		.amdhsa_user_sgpr_queue_ptr 0
		.amdhsa_user_sgpr_kernarg_segment_ptr 1
		.amdhsa_user_sgpr_dispatch_id 0
		.amdhsa_user_sgpr_flat_scratch_init 0
		.amdhsa_user_sgpr_kernarg_preload_length 0
		.amdhsa_user_sgpr_kernarg_preload_offset 0
		.amdhsa_user_sgpr_private_segment_size 0
		.amdhsa_uses_dynamic_stack 0
		.amdhsa_system_sgpr_private_segment_wavefront_offset 0
		.amdhsa_system_sgpr_workgroup_id_x 1
		.amdhsa_system_sgpr_workgroup_id_y 0
		.amdhsa_system_sgpr_workgroup_id_z 0
		.amdhsa_system_sgpr_workgroup_info 0
		.amdhsa_system_vgpr_workitem_id 0
		.amdhsa_next_free_vgpr 1
		.amdhsa_next_free_sgpr 0
		.amdhsa_accum_offset 4
		.amdhsa_reserve_vcc 0
		.amdhsa_reserve_flat_scratch 0
		.amdhsa_float_round_mode_32 0
		.amdhsa_float_round_mode_16_64 0
		.amdhsa_float_denorm_mode_32 3
		.amdhsa_float_denorm_mode_16_64 3
		.amdhsa_dx10_clamp 1
		.amdhsa_ieee_mode 1
		.amdhsa_fp16_overflow 0
		.amdhsa_tg_split 0
		.amdhsa_exception_fp_ieee_invalid_op 0
		.amdhsa_exception_fp_denorm_src 0
		.amdhsa_exception_fp_ieee_div_zero 0
		.amdhsa_exception_fp_ieee_overflow 0
		.amdhsa_exception_fp_ieee_underflow 0
		.amdhsa_exception_fp_ieee_inexact 0
		.amdhsa_exception_int_div_zero 0
	.end_amdhsa_kernel
	.section	.text._ZN7rocprim17ROCPRIM_400000_NS6detail17trampoline_kernelINS0_14default_configENS1_22reduce_config_selectorIfEEZNS1_11reduce_implILb1ES3_PfS7_fN6thrust23THRUST_200600_302600_NS7maximumIfEEEE10hipError_tPvRmT1_T2_T3_mT4_P12ihipStream_tbEUlT_E1_NS1_11comp_targetILNS1_3genE0ELNS1_11target_archE4294967295ELNS1_3gpuE0ELNS1_3repE0EEENS1_30default_config_static_selectorELNS0_4arch9wavefront6targetE1EEEvSF_,"axG",@progbits,_ZN7rocprim17ROCPRIM_400000_NS6detail17trampoline_kernelINS0_14default_configENS1_22reduce_config_selectorIfEEZNS1_11reduce_implILb1ES3_PfS7_fN6thrust23THRUST_200600_302600_NS7maximumIfEEEE10hipError_tPvRmT1_T2_T3_mT4_P12ihipStream_tbEUlT_E1_NS1_11comp_targetILNS1_3genE0ELNS1_11target_archE4294967295ELNS1_3gpuE0ELNS1_3repE0EEENS1_30default_config_static_selectorELNS0_4arch9wavefront6targetE1EEEvSF_,comdat
.Lfunc_end10:
	.size	_ZN7rocprim17ROCPRIM_400000_NS6detail17trampoline_kernelINS0_14default_configENS1_22reduce_config_selectorIfEEZNS1_11reduce_implILb1ES3_PfS7_fN6thrust23THRUST_200600_302600_NS7maximumIfEEEE10hipError_tPvRmT1_T2_T3_mT4_P12ihipStream_tbEUlT_E1_NS1_11comp_targetILNS1_3genE0ELNS1_11target_archE4294967295ELNS1_3gpuE0ELNS1_3repE0EEENS1_30default_config_static_selectorELNS0_4arch9wavefront6targetE1EEEvSF_, .Lfunc_end10-_ZN7rocprim17ROCPRIM_400000_NS6detail17trampoline_kernelINS0_14default_configENS1_22reduce_config_selectorIfEEZNS1_11reduce_implILb1ES3_PfS7_fN6thrust23THRUST_200600_302600_NS7maximumIfEEEE10hipError_tPvRmT1_T2_T3_mT4_P12ihipStream_tbEUlT_E1_NS1_11comp_targetILNS1_3genE0ELNS1_11target_archE4294967295ELNS1_3gpuE0ELNS1_3repE0EEENS1_30default_config_static_selectorELNS0_4arch9wavefront6targetE1EEEvSF_
                                        ; -- End function
	.section	.AMDGPU.csdata,"",@progbits
; Kernel info:
; codeLenInByte = 0
; NumSgprs: 4
; NumVgprs: 0
; NumAgprs: 0
; TotalNumVgprs: 0
; ScratchSize: 0
; MemoryBound: 0
; FloatMode: 240
; IeeeMode: 1
; LDSByteSize: 0 bytes/workgroup (compile time only)
; SGPRBlocks: 0
; VGPRBlocks: 0
; NumSGPRsForWavesPerEU: 4
; NumVGPRsForWavesPerEU: 1
; AccumOffset: 4
; Occupancy: 8
; WaveLimiterHint : 0
; COMPUTE_PGM_RSRC2:SCRATCH_EN: 0
; COMPUTE_PGM_RSRC2:USER_SGPR: 6
; COMPUTE_PGM_RSRC2:TRAP_HANDLER: 0
; COMPUTE_PGM_RSRC2:TGID_X_EN: 1
; COMPUTE_PGM_RSRC2:TGID_Y_EN: 0
; COMPUTE_PGM_RSRC2:TGID_Z_EN: 0
; COMPUTE_PGM_RSRC2:TIDIG_COMP_CNT: 0
; COMPUTE_PGM_RSRC3_GFX90A:ACCUM_OFFSET: 0
; COMPUTE_PGM_RSRC3_GFX90A:TG_SPLIT: 0
	.section	.text._ZN7rocprim17ROCPRIM_400000_NS6detail17trampoline_kernelINS0_14default_configENS1_22reduce_config_selectorIfEEZNS1_11reduce_implILb1ES3_PfS7_fN6thrust23THRUST_200600_302600_NS7maximumIfEEEE10hipError_tPvRmT1_T2_T3_mT4_P12ihipStream_tbEUlT_E1_NS1_11comp_targetILNS1_3genE5ELNS1_11target_archE942ELNS1_3gpuE9ELNS1_3repE0EEENS1_30default_config_static_selectorELNS0_4arch9wavefront6targetE1EEEvSF_,"axG",@progbits,_ZN7rocprim17ROCPRIM_400000_NS6detail17trampoline_kernelINS0_14default_configENS1_22reduce_config_selectorIfEEZNS1_11reduce_implILb1ES3_PfS7_fN6thrust23THRUST_200600_302600_NS7maximumIfEEEE10hipError_tPvRmT1_T2_T3_mT4_P12ihipStream_tbEUlT_E1_NS1_11comp_targetILNS1_3genE5ELNS1_11target_archE942ELNS1_3gpuE9ELNS1_3repE0EEENS1_30default_config_static_selectorELNS0_4arch9wavefront6targetE1EEEvSF_,comdat
	.protected	_ZN7rocprim17ROCPRIM_400000_NS6detail17trampoline_kernelINS0_14default_configENS1_22reduce_config_selectorIfEEZNS1_11reduce_implILb1ES3_PfS7_fN6thrust23THRUST_200600_302600_NS7maximumIfEEEE10hipError_tPvRmT1_T2_T3_mT4_P12ihipStream_tbEUlT_E1_NS1_11comp_targetILNS1_3genE5ELNS1_11target_archE942ELNS1_3gpuE9ELNS1_3repE0EEENS1_30default_config_static_selectorELNS0_4arch9wavefront6targetE1EEEvSF_ ; -- Begin function _ZN7rocprim17ROCPRIM_400000_NS6detail17trampoline_kernelINS0_14default_configENS1_22reduce_config_selectorIfEEZNS1_11reduce_implILb1ES3_PfS7_fN6thrust23THRUST_200600_302600_NS7maximumIfEEEE10hipError_tPvRmT1_T2_T3_mT4_P12ihipStream_tbEUlT_E1_NS1_11comp_targetILNS1_3genE5ELNS1_11target_archE942ELNS1_3gpuE9ELNS1_3repE0EEENS1_30default_config_static_selectorELNS0_4arch9wavefront6targetE1EEEvSF_
	.globl	_ZN7rocprim17ROCPRIM_400000_NS6detail17trampoline_kernelINS0_14default_configENS1_22reduce_config_selectorIfEEZNS1_11reduce_implILb1ES3_PfS7_fN6thrust23THRUST_200600_302600_NS7maximumIfEEEE10hipError_tPvRmT1_T2_T3_mT4_P12ihipStream_tbEUlT_E1_NS1_11comp_targetILNS1_3genE5ELNS1_11target_archE942ELNS1_3gpuE9ELNS1_3repE0EEENS1_30default_config_static_selectorELNS0_4arch9wavefront6targetE1EEEvSF_
	.p2align	8
	.type	_ZN7rocprim17ROCPRIM_400000_NS6detail17trampoline_kernelINS0_14default_configENS1_22reduce_config_selectorIfEEZNS1_11reduce_implILb1ES3_PfS7_fN6thrust23THRUST_200600_302600_NS7maximumIfEEEE10hipError_tPvRmT1_T2_T3_mT4_P12ihipStream_tbEUlT_E1_NS1_11comp_targetILNS1_3genE5ELNS1_11target_archE942ELNS1_3gpuE9ELNS1_3repE0EEENS1_30default_config_static_selectorELNS0_4arch9wavefront6targetE1EEEvSF_,@function
_ZN7rocprim17ROCPRIM_400000_NS6detail17trampoline_kernelINS0_14default_configENS1_22reduce_config_selectorIfEEZNS1_11reduce_implILb1ES3_PfS7_fN6thrust23THRUST_200600_302600_NS7maximumIfEEEE10hipError_tPvRmT1_T2_T3_mT4_P12ihipStream_tbEUlT_E1_NS1_11comp_targetILNS1_3genE5ELNS1_11target_archE942ELNS1_3gpuE9ELNS1_3repE0EEENS1_30default_config_static_selectorELNS0_4arch9wavefront6targetE1EEEvSF_: ; @_ZN7rocprim17ROCPRIM_400000_NS6detail17trampoline_kernelINS0_14default_configENS1_22reduce_config_selectorIfEEZNS1_11reduce_implILb1ES3_PfS7_fN6thrust23THRUST_200600_302600_NS7maximumIfEEEE10hipError_tPvRmT1_T2_T3_mT4_P12ihipStream_tbEUlT_E1_NS1_11comp_targetILNS1_3genE5ELNS1_11target_archE942ELNS1_3gpuE9ELNS1_3repE0EEENS1_30default_config_static_selectorELNS0_4arch9wavefront6targetE1EEEvSF_
; %bb.0:
	.section	.rodata,"a",@progbits
	.p2align	6, 0x0
	.amdhsa_kernel _ZN7rocprim17ROCPRIM_400000_NS6detail17trampoline_kernelINS0_14default_configENS1_22reduce_config_selectorIfEEZNS1_11reduce_implILb1ES3_PfS7_fN6thrust23THRUST_200600_302600_NS7maximumIfEEEE10hipError_tPvRmT1_T2_T3_mT4_P12ihipStream_tbEUlT_E1_NS1_11comp_targetILNS1_3genE5ELNS1_11target_archE942ELNS1_3gpuE9ELNS1_3repE0EEENS1_30default_config_static_selectorELNS0_4arch9wavefront6targetE1EEEvSF_
		.amdhsa_group_segment_fixed_size 0
		.amdhsa_private_segment_fixed_size 0
		.amdhsa_kernarg_size 40
		.amdhsa_user_sgpr_count 6
		.amdhsa_user_sgpr_private_segment_buffer 1
		.amdhsa_user_sgpr_dispatch_ptr 0
		.amdhsa_user_sgpr_queue_ptr 0
		.amdhsa_user_sgpr_kernarg_segment_ptr 1
		.amdhsa_user_sgpr_dispatch_id 0
		.amdhsa_user_sgpr_flat_scratch_init 0
		.amdhsa_user_sgpr_kernarg_preload_length 0
		.amdhsa_user_sgpr_kernarg_preload_offset 0
		.amdhsa_user_sgpr_private_segment_size 0
		.amdhsa_uses_dynamic_stack 0
		.amdhsa_system_sgpr_private_segment_wavefront_offset 0
		.amdhsa_system_sgpr_workgroup_id_x 1
		.amdhsa_system_sgpr_workgroup_id_y 0
		.amdhsa_system_sgpr_workgroup_id_z 0
		.amdhsa_system_sgpr_workgroup_info 0
		.amdhsa_system_vgpr_workitem_id 0
		.amdhsa_next_free_vgpr 1
		.amdhsa_next_free_sgpr 0
		.amdhsa_accum_offset 4
		.amdhsa_reserve_vcc 0
		.amdhsa_reserve_flat_scratch 0
		.amdhsa_float_round_mode_32 0
		.amdhsa_float_round_mode_16_64 0
		.amdhsa_float_denorm_mode_32 3
		.amdhsa_float_denorm_mode_16_64 3
		.amdhsa_dx10_clamp 1
		.amdhsa_ieee_mode 1
		.amdhsa_fp16_overflow 0
		.amdhsa_tg_split 0
		.amdhsa_exception_fp_ieee_invalid_op 0
		.amdhsa_exception_fp_denorm_src 0
		.amdhsa_exception_fp_ieee_div_zero 0
		.amdhsa_exception_fp_ieee_overflow 0
		.amdhsa_exception_fp_ieee_underflow 0
		.amdhsa_exception_fp_ieee_inexact 0
		.amdhsa_exception_int_div_zero 0
	.end_amdhsa_kernel
	.section	.text._ZN7rocprim17ROCPRIM_400000_NS6detail17trampoline_kernelINS0_14default_configENS1_22reduce_config_selectorIfEEZNS1_11reduce_implILb1ES3_PfS7_fN6thrust23THRUST_200600_302600_NS7maximumIfEEEE10hipError_tPvRmT1_T2_T3_mT4_P12ihipStream_tbEUlT_E1_NS1_11comp_targetILNS1_3genE5ELNS1_11target_archE942ELNS1_3gpuE9ELNS1_3repE0EEENS1_30default_config_static_selectorELNS0_4arch9wavefront6targetE1EEEvSF_,"axG",@progbits,_ZN7rocprim17ROCPRIM_400000_NS6detail17trampoline_kernelINS0_14default_configENS1_22reduce_config_selectorIfEEZNS1_11reduce_implILb1ES3_PfS7_fN6thrust23THRUST_200600_302600_NS7maximumIfEEEE10hipError_tPvRmT1_T2_T3_mT4_P12ihipStream_tbEUlT_E1_NS1_11comp_targetILNS1_3genE5ELNS1_11target_archE942ELNS1_3gpuE9ELNS1_3repE0EEENS1_30default_config_static_selectorELNS0_4arch9wavefront6targetE1EEEvSF_,comdat
.Lfunc_end11:
	.size	_ZN7rocprim17ROCPRIM_400000_NS6detail17trampoline_kernelINS0_14default_configENS1_22reduce_config_selectorIfEEZNS1_11reduce_implILb1ES3_PfS7_fN6thrust23THRUST_200600_302600_NS7maximumIfEEEE10hipError_tPvRmT1_T2_T3_mT4_P12ihipStream_tbEUlT_E1_NS1_11comp_targetILNS1_3genE5ELNS1_11target_archE942ELNS1_3gpuE9ELNS1_3repE0EEENS1_30default_config_static_selectorELNS0_4arch9wavefront6targetE1EEEvSF_, .Lfunc_end11-_ZN7rocprim17ROCPRIM_400000_NS6detail17trampoline_kernelINS0_14default_configENS1_22reduce_config_selectorIfEEZNS1_11reduce_implILb1ES3_PfS7_fN6thrust23THRUST_200600_302600_NS7maximumIfEEEE10hipError_tPvRmT1_T2_T3_mT4_P12ihipStream_tbEUlT_E1_NS1_11comp_targetILNS1_3genE5ELNS1_11target_archE942ELNS1_3gpuE9ELNS1_3repE0EEENS1_30default_config_static_selectorELNS0_4arch9wavefront6targetE1EEEvSF_
                                        ; -- End function
	.section	.AMDGPU.csdata,"",@progbits
; Kernel info:
; codeLenInByte = 0
; NumSgprs: 4
; NumVgprs: 0
; NumAgprs: 0
; TotalNumVgprs: 0
; ScratchSize: 0
; MemoryBound: 0
; FloatMode: 240
; IeeeMode: 1
; LDSByteSize: 0 bytes/workgroup (compile time only)
; SGPRBlocks: 0
; VGPRBlocks: 0
; NumSGPRsForWavesPerEU: 4
; NumVGPRsForWavesPerEU: 1
; AccumOffset: 4
; Occupancy: 8
; WaveLimiterHint : 0
; COMPUTE_PGM_RSRC2:SCRATCH_EN: 0
; COMPUTE_PGM_RSRC2:USER_SGPR: 6
; COMPUTE_PGM_RSRC2:TRAP_HANDLER: 0
; COMPUTE_PGM_RSRC2:TGID_X_EN: 1
; COMPUTE_PGM_RSRC2:TGID_Y_EN: 0
; COMPUTE_PGM_RSRC2:TGID_Z_EN: 0
; COMPUTE_PGM_RSRC2:TIDIG_COMP_CNT: 0
; COMPUTE_PGM_RSRC3_GFX90A:ACCUM_OFFSET: 0
; COMPUTE_PGM_RSRC3_GFX90A:TG_SPLIT: 0
	.section	.text._ZN7rocprim17ROCPRIM_400000_NS6detail17trampoline_kernelINS0_14default_configENS1_22reduce_config_selectorIfEEZNS1_11reduce_implILb1ES3_PfS7_fN6thrust23THRUST_200600_302600_NS7maximumIfEEEE10hipError_tPvRmT1_T2_T3_mT4_P12ihipStream_tbEUlT_E1_NS1_11comp_targetILNS1_3genE4ELNS1_11target_archE910ELNS1_3gpuE8ELNS1_3repE0EEENS1_30default_config_static_selectorELNS0_4arch9wavefront6targetE1EEEvSF_,"axG",@progbits,_ZN7rocprim17ROCPRIM_400000_NS6detail17trampoline_kernelINS0_14default_configENS1_22reduce_config_selectorIfEEZNS1_11reduce_implILb1ES3_PfS7_fN6thrust23THRUST_200600_302600_NS7maximumIfEEEE10hipError_tPvRmT1_T2_T3_mT4_P12ihipStream_tbEUlT_E1_NS1_11comp_targetILNS1_3genE4ELNS1_11target_archE910ELNS1_3gpuE8ELNS1_3repE0EEENS1_30default_config_static_selectorELNS0_4arch9wavefront6targetE1EEEvSF_,comdat
	.protected	_ZN7rocprim17ROCPRIM_400000_NS6detail17trampoline_kernelINS0_14default_configENS1_22reduce_config_selectorIfEEZNS1_11reduce_implILb1ES3_PfS7_fN6thrust23THRUST_200600_302600_NS7maximumIfEEEE10hipError_tPvRmT1_T2_T3_mT4_P12ihipStream_tbEUlT_E1_NS1_11comp_targetILNS1_3genE4ELNS1_11target_archE910ELNS1_3gpuE8ELNS1_3repE0EEENS1_30default_config_static_selectorELNS0_4arch9wavefront6targetE1EEEvSF_ ; -- Begin function _ZN7rocprim17ROCPRIM_400000_NS6detail17trampoline_kernelINS0_14default_configENS1_22reduce_config_selectorIfEEZNS1_11reduce_implILb1ES3_PfS7_fN6thrust23THRUST_200600_302600_NS7maximumIfEEEE10hipError_tPvRmT1_T2_T3_mT4_P12ihipStream_tbEUlT_E1_NS1_11comp_targetILNS1_3genE4ELNS1_11target_archE910ELNS1_3gpuE8ELNS1_3repE0EEENS1_30default_config_static_selectorELNS0_4arch9wavefront6targetE1EEEvSF_
	.globl	_ZN7rocprim17ROCPRIM_400000_NS6detail17trampoline_kernelINS0_14default_configENS1_22reduce_config_selectorIfEEZNS1_11reduce_implILb1ES3_PfS7_fN6thrust23THRUST_200600_302600_NS7maximumIfEEEE10hipError_tPvRmT1_T2_T3_mT4_P12ihipStream_tbEUlT_E1_NS1_11comp_targetILNS1_3genE4ELNS1_11target_archE910ELNS1_3gpuE8ELNS1_3repE0EEENS1_30default_config_static_selectorELNS0_4arch9wavefront6targetE1EEEvSF_
	.p2align	8
	.type	_ZN7rocprim17ROCPRIM_400000_NS6detail17trampoline_kernelINS0_14default_configENS1_22reduce_config_selectorIfEEZNS1_11reduce_implILb1ES3_PfS7_fN6thrust23THRUST_200600_302600_NS7maximumIfEEEE10hipError_tPvRmT1_T2_T3_mT4_P12ihipStream_tbEUlT_E1_NS1_11comp_targetILNS1_3genE4ELNS1_11target_archE910ELNS1_3gpuE8ELNS1_3repE0EEENS1_30default_config_static_selectorELNS0_4arch9wavefront6targetE1EEEvSF_,@function
_ZN7rocprim17ROCPRIM_400000_NS6detail17trampoline_kernelINS0_14default_configENS1_22reduce_config_selectorIfEEZNS1_11reduce_implILb1ES3_PfS7_fN6thrust23THRUST_200600_302600_NS7maximumIfEEEE10hipError_tPvRmT1_T2_T3_mT4_P12ihipStream_tbEUlT_E1_NS1_11comp_targetILNS1_3genE4ELNS1_11target_archE910ELNS1_3gpuE8ELNS1_3repE0EEENS1_30default_config_static_selectorELNS0_4arch9wavefront6targetE1EEEvSF_: ; @_ZN7rocprim17ROCPRIM_400000_NS6detail17trampoline_kernelINS0_14default_configENS1_22reduce_config_selectorIfEEZNS1_11reduce_implILb1ES3_PfS7_fN6thrust23THRUST_200600_302600_NS7maximumIfEEEE10hipError_tPvRmT1_T2_T3_mT4_P12ihipStream_tbEUlT_E1_NS1_11comp_targetILNS1_3genE4ELNS1_11target_archE910ELNS1_3gpuE8ELNS1_3repE0EEENS1_30default_config_static_selectorELNS0_4arch9wavefront6targetE1EEEvSF_
; %bb.0:
	s_load_dword s33, s[4:5], 0x4
	s_load_dwordx4 s[68:71], s[4:5], 0x8
	s_waitcnt lgkmcnt(0)
	s_cmp_lt_i32 s33, 8
	s_cbranch_scc1 .LBB12_11
; %bb.1:
	s_cmp_gt_i32 s33, 15
	s_cbranch_scc0 .LBB12_12
; %bb.2:
	s_cmp_gt_i32 s33, 31
	s_cbranch_scc0 .LBB12_13
; %bb.3:
	s_cmp_eq_u32 s33, 32
	s_mov_b64 s[72:73], 0
	s_cbranch_scc0 .LBB12_14
; %bb.4:
	s_mov_b32 s7, 0
	s_lshl_b32 s0, s6, 12
	s_mov_b32 s1, s7
	s_lshr_b64 s[2:3], s[70:71], 12
	s_lshl_b64 s[8:9], s[0:1], 2
	s_add_u32 s66, s68, s8
	s_addc_u32 s67, s69, s9
	s_cmp_lg_u64 s[2:3], s[6:7]
	s_cbranch_scc0 .LBB12_23
; %bb.5:
	v_lshlrev_b32_e32 v1, 2, v0
	global_load_dword v6, v1, s[66:67]
	global_load_dword v7, v1, s[66:67] offset:512
	global_load_dword v8, v1, s[66:67] offset:1024
	;; [unrolled: 1-line block ×7, first 2 shown]
	v_mov_b32_e32 v2, s67
	v_add_co_u32_e32 v4, vcc, s66, v1
	v_addc_co_u32_e32 v5, vcc, 0, v2, vcc
	v_add_co_u32_e32 v2, vcc, 0x1000, v4
	v_addc_co_u32_e32 v3, vcc, 0, v5, vcc
	global_load_dword v1, v[2:3], off
	global_load_dword v14, v[2:3], off offset:512
	global_load_dword v15, v[2:3], off offset:1024
	global_load_dword v16, v[2:3], off offset:1536
	global_load_dword v17, v[2:3], off offset:2048
	global_load_dword v18, v[2:3], off offset:2560
	global_load_dword v19, v[2:3], off offset:3072
	global_load_dword v20, v[2:3], off offset:3584
	v_add_co_u32_e32 v2, vcc, 0x2000, v4
	v_addc_co_u32_e32 v3, vcc, 0, v5, vcc
	global_load_dword v21, v[2:3], off
	global_load_dword v22, v[2:3], off offset:512
	global_load_dword v23, v[2:3], off offset:1024
	global_load_dword v24, v[2:3], off offset:1536
	global_load_dword v25, v[2:3], off offset:2048
	global_load_dword v26, v[2:3], off offset:2560
	global_load_dword v27, v[2:3], off offset:3072
	global_load_dword v28, v[2:3], off offset:3584
	v_add_co_u32_e32 v4, vcc, 0x3000, v4
	v_addc_co_u32_e32 v5, vcc, 0, v5, vcc
	global_load_dword v2, v[4:5], off
	global_load_dword v3, v[4:5], off offset:512
	global_load_dword v29, v[4:5], off offset:1024
	global_load_dword v30, v[4:5], off offset:1536
	global_load_dword v31, v[4:5], off offset:2048
	global_load_dword v32, v[4:5], off offset:2560
	global_load_dword v33, v[4:5], off offset:3072
	global_load_dword v34, v[4:5], off offset:3584
	s_waitcnt vmcnt(30)
	v_cmp_lt_f32_e32 vcc, v6, v7
	v_cndmask_b32_e32 v4, v6, v7, vcc
	s_waitcnt vmcnt(29)
	v_cmp_lt_f32_e32 vcc, v4, v8
	v_cndmask_b32_e32 v4, v4, v8, vcc
	;; [unrolled: 3-line block ×31, first 2 shown]
	v_mbcnt_lo_u32_b32 v2, -1, 0
	v_mbcnt_hi_u32_b32 v2, -1, v2
	v_mov_b32_dpp v3, v1 quad_perm:[1,0,3,2] row_mask:0xf bank_mask:0xf bound_ctrl:1
	v_cmp_gt_f32_e32 vcc, v1, v3
	v_cndmask_b32_e32 v1, v3, v1, vcc
	s_nop 1
	v_mov_b32_dpp v3, v1 quad_perm:[2,3,0,1] row_mask:0xf bank_mask:0xf bound_ctrl:1
	v_cmp_gt_f32_e32 vcc, v1, v3
	v_cndmask_b32_e32 v1, v3, v1, vcc
	s_nop 1
	v_mov_b32_dpp v3, v1 row_ror:4 row_mask:0xf bank_mask:0xf bound_ctrl:1
	v_cmp_gt_f32_e32 vcc, v1, v3
	v_cndmask_b32_e32 v1, v3, v1, vcc
	s_nop 1
	v_mov_b32_dpp v3, v1 row_ror:8 row_mask:0xf bank_mask:0xf bound_ctrl:1
	v_cmp_gt_f32_e32 vcc, v1, v3
	v_cndmask_b32_e32 v1, v3, v1, vcc
	s_nop 1
	v_mov_b32_dpp v3, v1 row_bcast:15 row_mask:0xf bank_mask:0xf bound_ctrl:1
	v_cmp_gt_f32_e32 vcc, v1, v3
	v_cndmask_b32_e32 v1, v3, v1, vcc
	s_nop 1
	v_mov_b32_dpp v3, v1 row_bcast:31 row_mask:0xf bank_mask:0xf bound_ctrl:1
	v_cmp_gt_f32_e32 vcc, v1, v3
	v_cndmask_b32_e32 v1, v3, v1, vcc
	v_lshlrev_b32_e32 v3, 2, v2
	v_or_b32_e32 v4, 0xfc, v3
	ds_bpermute_b32 v1, v4, v1
	v_cmp_eq_u32_e32 vcc, 0, v2
	s_and_saveexec_b64 s[2:3], vcc
	s_cbranch_execz .LBB12_7
; %bb.6:
	v_lshrrev_b32_e32 v4, 4, v0
	v_and_b32_e32 v4, 4, v4
	s_waitcnt lgkmcnt(0)
	ds_write_b32 v4, v1 offset:24
.LBB12_7:
	s_or_b64 exec, exec, s[2:3]
	v_cmp_gt_u32_e32 vcc, 64, v0
	s_waitcnt lgkmcnt(0)
	s_barrier
	s_and_saveexec_b64 s[2:3], vcc
	s_cbranch_execz .LBB12_9
; %bb.8:
	v_and_b32_e32 v1, 1, v2
	v_lshlrev_b32_e32 v1, 2, v1
	ds_read_b32 v1, v1 offset:24
	v_or_b32_e32 v2, 4, v3
	s_waitcnt lgkmcnt(0)
	ds_bpermute_b32 v2, v2, v1
	s_waitcnt lgkmcnt(0)
	v_cmp_lt_f32_e32 vcc, v1, v2
	v_cndmask_b32_e32 v1, v1, v2, vcc
.LBB12_9:
	s_or_b64 exec, exec, s[2:3]
.LBB12_10:
	v_cmp_eq_u32_e64 s[0:1], 0, v0
	s_and_b64 vcc, exec, s[72:73]
	s_cbranch_vccnz .LBB12_15
	s_branch .LBB12_93
.LBB12_11:
	s_mov_b64 s[0:1], 0
                                        ; implicit-def: $vgpr1
	s_cbranch_execnz .LBB12_166
	s_branch .LBB12_224
.LBB12_12:
	s_mov_b64 s[0:1], 0
                                        ; implicit-def: $vgpr1
	s_cbranch_execnz .LBB12_134
	s_branch .LBB12_142
.LBB12_13:
	s_mov_b64 s[72:73], -1
.LBB12_14:
	s_mov_b64 s[0:1], 0
                                        ; implicit-def: $vgpr1
	s_and_b64 vcc, exec, s[72:73]
	s_cbranch_vccz .LBB12_93
.LBB12_15:
	s_cmp_eq_u32 s33, 16
	s_cbranch_scc0 .LBB12_22
; %bb.16:
	s_mov_b32 s7, 0
	s_lshl_b32 s0, s6, 11
	s_mov_b32 s1, s7
	s_lshr_b64 s[2:3], s[70:71], 11
	s_lshl_b64 s[8:9], s[0:1], 2
	s_add_u32 s34, s68, s8
	s_addc_u32 s35, s69, s9
	s_cmp_lg_u64 s[2:3], s[6:7]
	s_cbranch_scc0 .LBB12_94
; %bb.17:
	v_lshlrev_b32_e32 v1, 2, v0
	global_load_dword v4, v1, s[34:35]
	global_load_dword v5, v1, s[34:35] offset:512
	global_load_dword v6, v1, s[34:35] offset:1024
	;; [unrolled: 1-line block ×7, first 2 shown]
	v_mov_b32_e32 v2, s35
	v_add_co_u32_e32 v3, vcc, s34, v1
	v_addc_co_u32_e32 v7, vcc, 0, v2, vcc
	v_add_co_u32_e32 v2, vcc, 0x1000, v3
	v_addc_co_u32_e32 v3, vcc, 0, v7, vcc
	global_load_dword v1, v[2:3], off
	global_load_dword v7, v[2:3], off offset:512
	global_load_dword v13, v[2:3], off offset:1024
	;; [unrolled: 1-line block ×7, first 2 shown]
	v_mbcnt_lo_u32_b32 v2, -1, 0
	v_mbcnt_hi_u32_b32 v2, -1, v2
	v_lshlrev_b32_e32 v3, 2, v2
	s_waitcnt vmcnt(14)
	v_cmp_lt_f32_e32 vcc, v4, v5
	v_cndmask_b32_e32 v4, v4, v5, vcc
	s_waitcnt vmcnt(13)
	v_cmp_lt_f32_e32 vcc, v4, v6
	v_cndmask_b32_e32 v4, v4, v6, vcc
	;; [unrolled: 3-line block ×15, first 2 shown]
	s_nop 1
	v_mov_b32_dpp v4, v1 quad_perm:[1,0,3,2] row_mask:0xf bank_mask:0xf bound_ctrl:1
	v_cmp_gt_f32_e32 vcc, v1, v4
	v_cndmask_b32_e32 v1, v4, v1, vcc
	s_nop 1
	v_mov_b32_dpp v4, v1 quad_perm:[2,3,0,1] row_mask:0xf bank_mask:0xf bound_ctrl:1
	v_cmp_gt_f32_e32 vcc, v1, v4
	v_cndmask_b32_e32 v1, v4, v1, vcc
	s_nop 1
	v_mov_b32_dpp v4, v1 row_ror:4 row_mask:0xf bank_mask:0xf bound_ctrl:1
	v_cmp_gt_f32_e32 vcc, v1, v4
	v_cndmask_b32_e32 v1, v4, v1, vcc
	s_nop 1
	v_mov_b32_dpp v4, v1 row_ror:8 row_mask:0xf bank_mask:0xf bound_ctrl:1
	v_cmp_gt_f32_e32 vcc, v1, v4
	v_cndmask_b32_e32 v1, v4, v1, vcc
	s_nop 1
	v_mov_b32_dpp v4, v1 row_bcast:15 row_mask:0xf bank_mask:0xf bound_ctrl:1
	v_cmp_gt_f32_e32 vcc, v1, v4
	v_cndmask_b32_e32 v1, v4, v1, vcc
	s_nop 1
	v_mov_b32_dpp v4, v1 row_bcast:31 row_mask:0xf bank_mask:0xf bound_ctrl:1
	v_cmp_gt_f32_e32 vcc, v1, v4
	v_cndmask_b32_e32 v1, v4, v1, vcc
	v_or_b32_e32 v4, 0xfc, v3
	ds_bpermute_b32 v1, v4, v1
	v_cmp_eq_u32_e32 vcc, 0, v2
	s_and_saveexec_b64 s[2:3], vcc
	s_cbranch_execz .LBB12_19
; %bb.18:
	v_lshrrev_b32_e32 v4, 4, v0
	v_and_b32_e32 v4, 4, v4
	s_waitcnt lgkmcnt(0)
	ds_write_b32 v4, v1
.LBB12_19:
	s_or_b64 exec, exec, s[2:3]
	v_cmp_gt_u32_e32 vcc, 64, v0
	s_waitcnt lgkmcnt(0)
	s_barrier
	s_and_saveexec_b64 s[2:3], vcc
	s_cbranch_execz .LBB12_21
; %bb.20:
	v_and_b32_e32 v1, 1, v2
	v_lshlrev_b32_e32 v1, 2, v1
	ds_read_b32 v1, v1
	v_or_b32_e32 v2, 4, v3
	s_waitcnt lgkmcnt(0)
	ds_bpermute_b32 v2, v2, v1
	s_waitcnt lgkmcnt(0)
	v_cmp_lt_f32_e32 vcc, v1, v2
	v_cndmask_b32_e32 v1, v1, v2, vcc
.LBB12_21:
	s_or_b64 exec, exec, s[2:3]
	s_mov_b64 s[2:3], 0
	s_branch .LBB12_95
.LBB12_22:
                                        ; implicit-def: $vgpr1
	s_branch .LBB12_142
.LBB12_23:
                                        ; implicit-def: $vgpr1
	s_cbranch_execz .LBB12_10
; %bb.24:
	s_sub_i32 s76, s70, s0
	v_cmp_gt_u32_e32 vcc, s76, v0
                                        ; implicit-def: $vgpr1
	s_and_saveexec_b64 s[0:1], vcc
	s_cbranch_execz .LBB12_26
; %bb.25:
	v_lshlrev_b32_e32 v1, 2, v0
	global_load_dword v1, v1, s[66:67]
.LBB12_26:
	s_or_b64 exec, exec, s[0:1]
	v_or_b32_e32 v2, 0x80, v0
	v_cmp_gt_u32_e32 vcc, s76, v2
                                        ; implicit-def: $vgpr2
	s_and_saveexec_b64 s[0:1], vcc
	s_cbranch_execz .LBB12_28
; %bb.27:
	v_lshlrev_b32_e32 v2, 2, v0
	global_load_dword v2, v2, s[66:67] offset:512
.LBB12_28:
	s_or_b64 exec, exec, s[0:1]
	v_or_b32_e32 v3, 0x100, v0
	v_cmp_gt_u32_e64 s[0:1], s76, v3
                                        ; implicit-def: $vgpr3
	s_and_saveexec_b64 s[2:3], s[0:1]
	s_cbranch_execz .LBB12_30
; %bb.29:
	v_lshlrev_b32_e32 v3, 2, v0
	global_load_dword v3, v3, s[66:67] offset:1024
.LBB12_30:
	s_or_b64 exec, exec, s[2:3]
	v_or_b32_e32 v4, 0x180, v0
	v_cmp_gt_u32_e64 s[2:3], s76, v4
                                        ; implicit-def: $vgpr4
	s_and_saveexec_b64 s[8:9], s[2:3]
	s_cbranch_execz .LBB12_32
; %bb.31:
	v_lshlrev_b32_e32 v4, 2, v0
	global_load_dword v4, v4, s[66:67] offset:1536
.LBB12_32:
	s_or_b64 exec, exec, s[8:9]
	v_or_b32_e32 v5, 0x200, v0
	v_cmp_gt_u32_e64 s[8:9], s76, v5
                                        ; implicit-def: $vgpr5
	s_and_saveexec_b64 s[10:11], s[8:9]
	s_cbranch_execz .LBB12_34
; %bb.33:
	v_lshlrev_b32_e32 v5, 2, v0
	global_load_dword v5, v5, s[66:67] offset:2048
.LBB12_34:
	s_or_b64 exec, exec, s[10:11]
	v_or_b32_e32 v6, 0x280, v0
	v_cmp_gt_u32_e64 s[10:11], s76, v6
                                        ; implicit-def: $vgpr6
	s_and_saveexec_b64 s[12:13], s[10:11]
	s_cbranch_execz .LBB12_36
; %bb.35:
	v_lshlrev_b32_e32 v6, 2, v0
	global_load_dword v6, v6, s[66:67] offset:2560
.LBB12_36:
	s_or_b64 exec, exec, s[12:13]
	v_or_b32_e32 v7, 0x300, v0
	v_cmp_gt_u32_e64 s[12:13], s76, v7
                                        ; implicit-def: $vgpr7
	s_and_saveexec_b64 s[14:15], s[12:13]
	s_cbranch_execz .LBB12_38
; %bb.37:
	v_lshlrev_b32_e32 v7, 2, v0
	global_load_dword v7, v7, s[66:67] offset:3072
.LBB12_38:
	s_or_b64 exec, exec, s[14:15]
	v_or_b32_e32 v8, 0x380, v0
	v_cmp_gt_u32_e64 s[14:15], s76, v8
                                        ; implicit-def: $vgpr8
	s_and_saveexec_b64 s[16:17], s[14:15]
	s_cbranch_execz .LBB12_40
; %bb.39:
	v_lshlrev_b32_e32 v8, 2, v0
	global_load_dword v8, v8, s[66:67] offset:3584
.LBB12_40:
	s_or_b64 exec, exec, s[16:17]
	v_or_b32_e32 v10, 0x400, v0
	v_cmp_gt_u32_e64 s[16:17], s76, v10
                                        ; implicit-def: $vgpr9
	s_and_saveexec_b64 s[18:19], s[16:17]
	s_cbranch_execz .LBB12_42
; %bb.41:
	v_lshlrev_b32_e32 v9, 2, v10
	global_load_dword v9, v9, s[66:67]
.LBB12_42:
	s_or_b64 exec, exec, s[18:19]
	v_or_b32_e32 v11, 0x480, v0
	v_cmp_gt_u32_e64 s[18:19], s76, v11
                                        ; implicit-def: $vgpr10
	s_and_saveexec_b64 s[20:21], s[18:19]
	s_cbranch_execz .LBB12_44
; %bb.43:
	v_lshlrev_b32_e32 v10, 2, v11
	global_load_dword v10, v10, s[66:67]
.LBB12_44:
	s_or_b64 exec, exec, s[20:21]
	v_or_b32_e32 v12, 0x500, v0
	v_cmp_gt_u32_e64 s[20:21], s76, v12
                                        ; implicit-def: $vgpr11
	s_and_saveexec_b64 s[22:23], s[20:21]
	s_cbranch_execz .LBB12_46
; %bb.45:
	v_lshlrev_b32_e32 v11, 2, v12
	global_load_dword v11, v11, s[66:67]
.LBB12_46:
	s_or_b64 exec, exec, s[22:23]
	v_or_b32_e32 v13, 0x580, v0
	v_cmp_gt_u32_e64 s[22:23], s76, v13
                                        ; implicit-def: $vgpr12
	s_and_saveexec_b64 s[24:25], s[22:23]
	s_cbranch_execz .LBB12_48
; %bb.47:
	v_lshlrev_b32_e32 v12, 2, v13
	global_load_dword v12, v12, s[66:67]
.LBB12_48:
	s_or_b64 exec, exec, s[24:25]
	v_or_b32_e32 v14, 0x600, v0
	v_cmp_gt_u32_e64 s[24:25], s76, v14
                                        ; implicit-def: $vgpr13
	s_and_saveexec_b64 s[26:27], s[24:25]
	s_cbranch_execz .LBB12_50
; %bb.49:
	v_lshlrev_b32_e32 v13, 2, v14
	global_load_dword v13, v13, s[66:67]
.LBB12_50:
	s_or_b64 exec, exec, s[26:27]
	v_or_b32_e32 v15, 0x680, v0
	v_cmp_gt_u32_e64 s[26:27], s76, v15
                                        ; implicit-def: $vgpr14
	s_and_saveexec_b64 s[28:29], s[26:27]
	s_cbranch_execz .LBB12_52
; %bb.51:
	v_lshlrev_b32_e32 v14, 2, v15
	global_load_dword v14, v14, s[66:67]
.LBB12_52:
	s_or_b64 exec, exec, s[28:29]
	v_or_b32_e32 v16, 0x700, v0
	v_cmp_gt_u32_e64 s[28:29], s76, v16
                                        ; implicit-def: $vgpr15
	s_and_saveexec_b64 s[30:31], s[28:29]
	s_cbranch_execz .LBB12_54
; %bb.53:
	v_lshlrev_b32_e32 v15, 2, v16
	global_load_dword v15, v15, s[66:67]
.LBB12_54:
	s_or_b64 exec, exec, s[30:31]
	v_or_b32_e32 v17, 0x780, v0
	v_cmp_gt_u32_e64 s[30:31], s76, v17
                                        ; implicit-def: $vgpr16
	s_and_saveexec_b64 s[34:35], s[30:31]
	s_cbranch_execz .LBB12_56
; %bb.55:
	v_lshlrev_b32_e32 v16, 2, v17
	global_load_dword v16, v16, s[66:67]
.LBB12_56:
	s_or_b64 exec, exec, s[34:35]
	v_or_b32_e32 v18, 0x800, v0
	v_cmp_gt_u32_e64 s[34:35], s76, v18
                                        ; implicit-def: $vgpr17
	s_and_saveexec_b64 s[36:37], s[34:35]
	s_cbranch_execz .LBB12_58
; %bb.57:
	v_lshlrev_b32_e32 v17, 2, v18
	global_load_dword v17, v17, s[66:67]
.LBB12_58:
	s_or_b64 exec, exec, s[36:37]
	v_or_b32_e32 v19, 0x880, v0
	v_cmp_gt_u32_e64 s[36:37], s76, v19
                                        ; implicit-def: $vgpr18
	s_and_saveexec_b64 s[38:39], s[36:37]
	s_cbranch_execz .LBB12_60
; %bb.59:
	v_lshlrev_b32_e32 v18, 2, v19
	global_load_dword v18, v18, s[66:67]
.LBB12_60:
	s_or_b64 exec, exec, s[38:39]
	v_or_b32_e32 v20, 0x900, v0
	v_cmp_gt_u32_e64 s[38:39], s76, v20
                                        ; implicit-def: $vgpr19
	s_and_saveexec_b64 s[40:41], s[38:39]
	s_cbranch_execz .LBB12_62
; %bb.61:
	v_lshlrev_b32_e32 v19, 2, v20
	global_load_dword v19, v19, s[66:67]
.LBB12_62:
	s_or_b64 exec, exec, s[40:41]
	v_or_b32_e32 v21, 0x980, v0
	v_cmp_gt_u32_e64 s[40:41], s76, v21
                                        ; implicit-def: $vgpr20
	s_and_saveexec_b64 s[42:43], s[40:41]
	s_cbranch_execz .LBB12_64
; %bb.63:
	v_lshlrev_b32_e32 v20, 2, v21
	global_load_dword v20, v20, s[66:67]
.LBB12_64:
	s_or_b64 exec, exec, s[42:43]
	v_or_b32_e32 v22, 0xa00, v0
	v_cmp_gt_u32_e64 s[42:43], s76, v22
                                        ; implicit-def: $vgpr21
	s_and_saveexec_b64 s[44:45], s[42:43]
	s_cbranch_execz .LBB12_66
; %bb.65:
	v_lshlrev_b32_e32 v21, 2, v22
	global_load_dword v21, v21, s[66:67]
.LBB12_66:
	s_or_b64 exec, exec, s[44:45]
	v_or_b32_e32 v23, 0xa80, v0
	v_cmp_gt_u32_e64 s[44:45], s76, v23
                                        ; implicit-def: $vgpr22
	s_and_saveexec_b64 s[46:47], s[44:45]
	s_cbranch_execz .LBB12_68
; %bb.67:
	v_lshlrev_b32_e32 v22, 2, v23
	global_load_dword v22, v22, s[66:67]
.LBB12_68:
	s_or_b64 exec, exec, s[46:47]
	v_or_b32_e32 v24, 0xb00, v0
	v_cmp_gt_u32_e64 s[46:47], s76, v24
                                        ; implicit-def: $vgpr23
	s_and_saveexec_b64 s[48:49], s[46:47]
	s_cbranch_execz .LBB12_70
; %bb.69:
	v_lshlrev_b32_e32 v23, 2, v24
	global_load_dword v23, v23, s[66:67]
.LBB12_70:
	s_or_b64 exec, exec, s[48:49]
	v_or_b32_e32 v25, 0xb80, v0
	v_cmp_gt_u32_e64 s[48:49], s76, v25
                                        ; implicit-def: $vgpr24
	s_and_saveexec_b64 s[50:51], s[48:49]
	s_cbranch_execz .LBB12_72
; %bb.71:
	v_lshlrev_b32_e32 v24, 2, v25
	global_load_dword v24, v24, s[66:67]
.LBB12_72:
	s_or_b64 exec, exec, s[50:51]
	v_or_b32_e32 v26, 0xc00, v0
	v_cmp_gt_u32_e64 s[50:51], s76, v26
                                        ; implicit-def: $vgpr25
	s_and_saveexec_b64 s[52:53], s[50:51]
	s_cbranch_execz .LBB12_74
; %bb.73:
	v_lshlrev_b32_e32 v25, 2, v26
	global_load_dword v25, v25, s[66:67]
.LBB12_74:
	s_or_b64 exec, exec, s[52:53]
	v_or_b32_e32 v27, 0xc80, v0
	v_cmp_gt_u32_e64 s[52:53], s76, v27
                                        ; implicit-def: $vgpr26
	s_and_saveexec_b64 s[54:55], s[52:53]
	s_cbranch_execz .LBB12_76
; %bb.75:
	v_lshlrev_b32_e32 v26, 2, v27
	global_load_dword v26, v26, s[66:67]
.LBB12_76:
	s_or_b64 exec, exec, s[54:55]
	v_or_b32_e32 v28, 0xd00, v0
	v_cmp_gt_u32_e64 s[54:55], s76, v28
                                        ; implicit-def: $vgpr27
	s_and_saveexec_b64 s[56:57], s[54:55]
	s_cbranch_execz .LBB12_78
; %bb.77:
	v_lshlrev_b32_e32 v27, 2, v28
	global_load_dword v27, v27, s[66:67]
.LBB12_78:
	s_or_b64 exec, exec, s[56:57]
	v_or_b32_e32 v29, 0xd80, v0
	v_cmp_gt_u32_e64 s[56:57], s76, v29
                                        ; implicit-def: $vgpr28
	s_and_saveexec_b64 s[58:59], s[56:57]
	s_cbranch_execz .LBB12_80
; %bb.79:
	v_lshlrev_b32_e32 v28, 2, v29
	global_load_dword v28, v28, s[66:67]
.LBB12_80:
	s_or_b64 exec, exec, s[58:59]
	v_or_b32_e32 v30, 0xe00, v0
	v_cmp_gt_u32_e64 s[58:59], s76, v30
                                        ; implicit-def: $vgpr29
	s_and_saveexec_b64 s[60:61], s[58:59]
	s_cbranch_execz .LBB12_82
; %bb.81:
	v_lshlrev_b32_e32 v29, 2, v30
	global_load_dword v29, v29, s[66:67]
.LBB12_82:
	s_or_b64 exec, exec, s[60:61]
	v_or_b32_e32 v31, 0xe80, v0
	v_cmp_gt_u32_e64 s[60:61], s76, v31
                                        ; implicit-def: $vgpr30
	s_and_saveexec_b64 s[62:63], s[60:61]
	s_cbranch_execz .LBB12_84
; %bb.83:
	v_lshlrev_b32_e32 v30, 2, v31
	global_load_dword v30, v30, s[66:67]
.LBB12_84:
	s_or_b64 exec, exec, s[62:63]
	v_or_b32_e32 v32, 0xf00, v0
	v_cmp_gt_u32_e64 s[62:63], s76, v32
                                        ; implicit-def: $vgpr31
	s_and_saveexec_b64 s[64:65], s[62:63]
	s_cbranch_execz .LBB12_86
; %bb.85:
	v_lshlrev_b32_e32 v31, 2, v32
	global_load_dword v31, v31, s[66:67]
.LBB12_86:
	s_or_b64 exec, exec, s[64:65]
	v_or_b32_e32 v33, 0xf80, v0
	v_cmp_gt_u32_e64 s[64:65], s76, v33
                                        ; implicit-def: $vgpr32
	s_and_saveexec_b64 s[74:75], s[64:65]
	s_cbranch_execz .LBB12_88
; %bb.87:
	v_lshlrev_b32_e32 v32, 2, v33
	global_load_dword v32, v32, s[66:67]
.LBB12_88:
	s_or_b64 exec, exec, s[74:75]
	s_waitcnt vmcnt(0)
	v_cmp_lt_f32_e64 s[66:67], v1, v2
	s_and_b64 vcc, vcc, s[66:67]
	v_cndmask_b32_e32 v1, v1, v2, vcc
	v_cmp_lt_f32_e32 vcc, v1, v3
	s_and_b64 vcc, s[0:1], vcc
	v_cndmask_b32_e32 v1, v1, v3, vcc
	v_cmp_lt_f32_e32 vcc, v1, v4
	s_and_b64 vcc, s[2:3], vcc
	;; [unrolled: 3-line block ×29, first 2 shown]
	v_cndmask_b32_e32 v1, v1, v31, vcc
	v_mbcnt_lo_u32_b32 v2, -1, 0
	v_cmp_lt_f32_e32 vcc, v1, v32
	v_mbcnt_hi_u32_b32 v2, -1, v2
	s_and_b64 vcc, s[64:65], vcc
	v_and_b32_e32 v3, 63, v2
	v_cndmask_b32_e32 v1, v1, v32, vcc
	v_cmp_ne_u32_e32 vcc, 63, v3
	v_addc_co_u32_e32 v4, vcc, 0, v2, vcc
	v_lshlrev_b32_e32 v4, 2, v4
	ds_bpermute_b32 v4, v4, v1
	s_min_u32 s8, s76, 0x80
	v_and_b32_e32 v5, 64, v0
	v_sub_u32_e64 v5, s8, v5 clamp
	v_add_u32_e32 v6, 1, v3
	s_waitcnt lgkmcnt(0)
	v_cmp_lt_f32_e32 vcc, v1, v4
	v_cmp_gt_u32_e64 s[0:1], 62, v3
	v_cndmask_b32_e32 v4, v1, v4, vcc
	v_cmp_lt_u32_e32 vcc, v6, v5
	v_cndmask_b32_e64 v6, 0, 1, s[0:1]
	v_lshlrev_b32_e32 v6, 1, v6
	v_cndmask_b32_e32 v4, v1, v4, vcc
	v_add_lshl_u32 v6, v6, v2, 2
	ds_bpermute_b32 v6, v6, v4
	v_add_u32_e32 v7, 2, v3
	s_waitcnt lgkmcnt(0)
	v_cmp_lt_f32_e64 s[0:1], v4, v6
	v_cndmask_b32_e64 v6, v4, v6, s[0:1]
	v_cmp_lt_u32_e64 s[0:1], v7, v5
	v_cndmask_b32_e64 v4, v4, v6, s[0:1]
	v_cmp_gt_u32_e64 s[0:1], 60, v3
	v_cndmask_b32_e64 v6, 0, 1, s[0:1]
	v_lshlrev_b32_e32 v6, 2, v6
	v_add_lshl_u32 v6, v6, v2, 2
	ds_bpermute_b32 v6, v6, v4
	v_add_u32_e32 v7, 4, v3
	s_waitcnt lgkmcnt(0)
	v_cmp_lt_f32_e64 s[0:1], v4, v6
	v_cndmask_b32_e64 v6, v4, v6, s[0:1]
	v_cmp_lt_u32_e64 s[0:1], v7, v5
	v_cndmask_b32_e64 v4, v4, v6, s[0:1]
	v_cmp_gt_u32_e64 s[0:1], 56, v3
	v_cndmask_b32_e64 v6, 0, 1, s[0:1]
	v_lshlrev_b32_e32 v6, 3, v6
	;; [unrolled: 11-line block ×4, first 2 shown]
	v_add_lshl_u32 v6, v6, v2, 2
	ds_bpermute_b32 v6, v6, v4
	v_add_u32_e32 v3, 32, v3
	v_cmp_lt_u32_e64 s[0:1], v3, v5
	s_waitcnt lgkmcnt(0)
	v_cmp_lt_f32_e64 s[2:3], v4, v6
	s_and_b64 s[0:1], s[0:1], s[2:3]
	v_cndmask_b32_e64 v3, v4, v6, s[0:1]
	v_cndmask_b32_e32 v1, v1, v3, vcc
	v_cmp_eq_u32_e32 vcc, 0, v2
	s_and_saveexec_b64 s[0:1], vcc
	s_cbranch_execz .LBB12_90
; %bb.89:
	v_lshrrev_b32_e32 v3, 4, v0
	v_and_b32_e32 v3, 4, v3
	ds_write_b32 v3, v1 offset:48
.LBB12_90:
	s_or_b64 exec, exec, s[0:1]
	v_cmp_gt_u32_e32 vcc, 2, v0
	s_waitcnt lgkmcnt(0)
	s_barrier
	s_and_saveexec_b64 s[2:3], vcc
	s_cbranch_execz .LBB12_92
; %bb.91:
	v_lshlrev_b32_e32 v1, 2, v2
	ds_read_b32 v3, v1 offset:48
	v_or_b32_e32 v1, 4, v1
	s_add_i32 s8, s8, 63
	v_and_b32_e32 v2, 1, v2
	s_lshr_b32 s0, s8, 6
	s_waitcnt lgkmcnt(0)
	ds_bpermute_b32 v1, v1, v3
	v_add_u32_e32 v2, 1, v2
	v_cmp_gt_u32_e32 vcc, s0, v2
	s_waitcnt lgkmcnt(0)
	v_cmp_lt_f32_e64 s[0:1], v3, v1
	s_and_b64 vcc, vcc, s[0:1]
	v_cndmask_b32_e32 v1, v3, v1, vcc
.LBB12_92:
	s_or_b64 exec, exec, s[2:3]
	v_cmp_eq_u32_e64 s[0:1], 0, v0
	s_and_b64 vcc, exec, s[72:73]
	s_cbranch_vccnz .LBB12_15
.LBB12_93:
	s_branch .LBB12_142
.LBB12_94:
	s_mov_b64 s[2:3], -1
                                        ; implicit-def: $vgpr1
.LBB12_95:
	s_and_b64 vcc, exec, s[2:3]
	s_cbranch_vccz .LBB12_133
; %bb.96:
	s_sub_i32 s38, s70, s0
	v_cmp_gt_u32_e32 vcc, s38, v0
                                        ; implicit-def: $vgpr2_vgpr3_vgpr4_vgpr5_vgpr6_vgpr7_vgpr8_vgpr9_vgpr10_vgpr11_vgpr12_vgpr13_vgpr14_vgpr15_vgpr16_vgpr17
	s_and_saveexec_b64 s[0:1], vcc
	s_cbranch_execz .LBB12_98
; %bb.97:
	v_lshlrev_b32_e32 v1, 2, v0
	global_load_dword v2, v1, s[34:35]
.LBB12_98:
	s_or_b64 exec, exec, s[0:1]
	v_or_b32_e32 v1, 0x80, v0
	v_cmp_gt_u32_e32 vcc, s38, v1
	s_and_saveexec_b64 s[0:1], vcc
	s_cbranch_execz .LBB12_100
; %bb.99:
	v_lshlrev_b32_e32 v1, 2, v0
	global_load_dword v3, v1, s[34:35] offset:512
.LBB12_100:
	s_or_b64 exec, exec, s[0:1]
	v_or_b32_e32 v1, 0x100, v0
	v_cmp_gt_u32_e64 s[0:1], s38, v1
	s_and_saveexec_b64 s[2:3], s[0:1]
	s_cbranch_execz .LBB12_102
; %bb.101:
	v_lshlrev_b32_e32 v1, 2, v0
	global_load_dword v4, v1, s[34:35] offset:1024
.LBB12_102:
	s_or_b64 exec, exec, s[2:3]
	v_or_b32_e32 v1, 0x180, v0
	v_cmp_gt_u32_e64 s[2:3], s38, v1
	s_and_saveexec_b64 s[8:9], s[2:3]
	s_cbranch_execz .LBB12_104
; %bb.103:
	v_lshlrev_b32_e32 v1, 2, v0
	global_load_dword v5, v1, s[34:35] offset:1536
.LBB12_104:
	s_or_b64 exec, exec, s[8:9]
	v_or_b32_e32 v1, 0x200, v0
	v_cmp_gt_u32_e64 s[8:9], s38, v1
	s_and_saveexec_b64 s[10:11], s[8:9]
	s_cbranch_execz .LBB12_106
; %bb.105:
	v_lshlrev_b32_e32 v1, 2, v0
	global_load_dword v6, v1, s[34:35] offset:2048
.LBB12_106:
	s_or_b64 exec, exec, s[10:11]
	v_or_b32_e32 v1, 0x280, v0
	v_cmp_gt_u32_e64 s[10:11], s38, v1
	s_and_saveexec_b64 s[12:13], s[10:11]
	s_cbranch_execz .LBB12_108
; %bb.107:
	v_lshlrev_b32_e32 v1, 2, v0
	global_load_dword v7, v1, s[34:35] offset:2560
.LBB12_108:
	s_or_b64 exec, exec, s[12:13]
	v_or_b32_e32 v1, 0x300, v0
	v_cmp_gt_u32_e64 s[12:13], s38, v1
	s_and_saveexec_b64 s[14:15], s[12:13]
	s_cbranch_execz .LBB12_110
; %bb.109:
	v_lshlrev_b32_e32 v1, 2, v0
	global_load_dword v8, v1, s[34:35] offset:3072
.LBB12_110:
	s_or_b64 exec, exec, s[14:15]
	v_or_b32_e32 v1, 0x380, v0
	v_cmp_gt_u32_e64 s[14:15], s38, v1
	s_and_saveexec_b64 s[16:17], s[14:15]
	s_cbranch_execz .LBB12_112
; %bb.111:
	v_lshlrev_b32_e32 v1, 2, v0
	global_load_dword v9, v1, s[34:35] offset:3584
.LBB12_112:
	s_or_b64 exec, exec, s[16:17]
	v_or_b32_e32 v1, 0x400, v0
	v_cmp_gt_u32_e64 s[16:17], s38, v1
	s_and_saveexec_b64 s[18:19], s[16:17]
	s_cbranch_execz .LBB12_114
; %bb.113:
	v_lshlrev_b32_e32 v1, 2, v1
	global_load_dword v10, v1, s[34:35]
.LBB12_114:
	s_or_b64 exec, exec, s[18:19]
	v_or_b32_e32 v1, 0x480, v0
	v_cmp_gt_u32_e64 s[18:19], s38, v1
	s_and_saveexec_b64 s[20:21], s[18:19]
	s_cbranch_execz .LBB12_116
; %bb.115:
	v_lshlrev_b32_e32 v1, 2, v1
	global_load_dword v11, v1, s[34:35]
.LBB12_116:
	s_or_b64 exec, exec, s[20:21]
	v_or_b32_e32 v1, 0x500, v0
	v_cmp_gt_u32_e64 s[20:21], s38, v1
	s_and_saveexec_b64 s[22:23], s[20:21]
	;; [unrolled: 9-line block ×7, first 2 shown]
	s_cbranch_execz .LBB12_128
; %bb.127:
	v_lshlrev_b32_e32 v1, 2, v1
	global_load_dword v17, v1, s[34:35]
.LBB12_128:
	s_or_b64 exec, exec, s[36:37]
	s_waitcnt vmcnt(0)
	v_cmp_lt_f32_e64 s[34:35], v2, v3
	s_and_b64 vcc, vcc, s[34:35]
	v_cndmask_b32_e32 v1, v2, v3, vcc
	v_cmp_lt_f32_e32 vcc, v1, v4
	s_and_b64 vcc, s[0:1], vcc
	v_cndmask_b32_e32 v1, v1, v4, vcc
	v_cmp_lt_f32_e32 vcc, v1, v5
	s_and_b64 vcc, s[2:3], vcc
	v_cndmask_b32_e32 v1, v1, v5, vcc
	v_cmp_lt_f32_e32 vcc, v1, v6
	s_and_b64 vcc, s[8:9], vcc
	v_cndmask_b32_e32 v1, v1, v6, vcc
	v_cmp_lt_f32_e32 vcc, v1, v7
	s_and_b64 vcc, s[10:11], vcc
	v_cndmask_b32_e32 v1, v1, v7, vcc
	v_cmp_lt_f32_e32 vcc, v1, v8
	s_and_b64 vcc, s[12:13], vcc
	v_cndmask_b32_e32 v1, v1, v8, vcc
	v_cmp_lt_f32_e32 vcc, v1, v9
	s_and_b64 vcc, s[14:15], vcc
	v_cndmask_b32_e32 v1, v1, v9, vcc
	v_cmp_lt_f32_e32 vcc, v1, v10
	s_and_b64 vcc, s[16:17], vcc
	v_cndmask_b32_e32 v1, v1, v10, vcc
	v_cmp_lt_f32_e32 vcc, v1, v11
	s_and_b64 vcc, s[18:19], vcc
	v_cndmask_b32_e32 v1, v1, v11, vcc
	v_cmp_lt_f32_e32 vcc, v1, v12
	s_and_b64 vcc, s[20:21], vcc
	v_cndmask_b32_e32 v1, v1, v12, vcc
	v_cmp_lt_f32_e32 vcc, v1, v13
	s_and_b64 vcc, s[22:23], vcc
	v_cndmask_b32_e32 v1, v1, v13, vcc
	v_cmp_lt_f32_e32 vcc, v1, v14
	s_and_b64 vcc, s[24:25], vcc
	v_cndmask_b32_e32 v1, v1, v14, vcc
	v_cmp_lt_f32_e32 vcc, v1, v15
	s_and_b64 vcc, s[26:27], vcc
	v_cndmask_b32_e32 v1, v1, v15, vcc
	v_cmp_lt_f32_e32 vcc, v1, v16
	s_and_b64 vcc, s[28:29], vcc
	v_cndmask_b32_e32 v1, v1, v16, vcc
	v_mbcnt_lo_u32_b32 v2, -1, 0
	v_cmp_lt_f32_e32 vcc, v1, v17
	v_mbcnt_hi_u32_b32 v2, -1, v2
	s_and_b64 vcc, s[30:31], vcc
	v_and_b32_e32 v3, 63, v2
	v_cndmask_b32_e32 v1, v1, v17, vcc
	v_cmp_ne_u32_e32 vcc, 63, v3
	v_addc_co_u32_e32 v4, vcc, 0, v2, vcc
	v_lshlrev_b32_e32 v4, 2, v4
	ds_bpermute_b32 v4, v4, v1
	s_min_u32 s8, s38, 0x80
	v_and_b32_e32 v5, 64, v0
	v_sub_u32_e64 v5, s8, v5 clamp
	v_add_u32_e32 v6, 1, v3
	s_waitcnt lgkmcnt(0)
	v_cmp_lt_f32_e32 vcc, v1, v4
	v_cmp_gt_u32_e64 s[0:1], 62, v3
	v_cndmask_b32_e32 v4, v1, v4, vcc
	v_cmp_lt_u32_e32 vcc, v6, v5
	v_cndmask_b32_e64 v6, 0, 1, s[0:1]
	v_lshlrev_b32_e32 v6, 1, v6
	v_cndmask_b32_e32 v4, v1, v4, vcc
	v_add_lshl_u32 v6, v6, v2, 2
	ds_bpermute_b32 v6, v6, v4
	v_add_u32_e32 v7, 2, v3
	s_waitcnt lgkmcnt(0)
	v_cmp_lt_f32_e64 s[0:1], v4, v6
	v_cndmask_b32_e64 v6, v4, v6, s[0:1]
	v_cmp_lt_u32_e64 s[0:1], v7, v5
	v_cndmask_b32_e64 v4, v4, v6, s[0:1]
	v_cmp_gt_u32_e64 s[0:1], 60, v3
	v_cndmask_b32_e64 v6, 0, 1, s[0:1]
	v_lshlrev_b32_e32 v6, 2, v6
	v_add_lshl_u32 v6, v6, v2, 2
	ds_bpermute_b32 v6, v6, v4
	v_add_u32_e32 v7, 4, v3
	s_waitcnt lgkmcnt(0)
	v_cmp_lt_f32_e64 s[0:1], v4, v6
	v_cndmask_b32_e64 v6, v4, v6, s[0:1]
	v_cmp_lt_u32_e64 s[0:1], v7, v5
	v_cndmask_b32_e64 v4, v4, v6, s[0:1]
	v_cmp_gt_u32_e64 s[0:1], 56, v3
	v_cndmask_b32_e64 v6, 0, 1, s[0:1]
	v_lshlrev_b32_e32 v6, 3, v6
	;; [unrolled: 11-line block ×4, first 2 shown]
	v_add_lshl_u32 v6, v6, v2, 2
	ds_bpermute_b32 v6, v6, v4
	v_add_u32_e32 v3, 32, v3
	v_cmp_lt_u32_e64 s[0:1], v3, v5
	s_waitcnt lgkmcnt(0)
	v_cmp_lt_f32_e64 s[2:3], v4, v6
	s_and_b64 s[0:1], s[0:1], s[2:3]
	v_cndmask_b32_e64 v3, v4, v6, s[0:1]
	v_cndmask_b32_e32 v1, v1, v3, vcc
	v_cmp_eq_u32_e32 vcc, 0, v2
	s_and_saveexec_b64 s[0:1], vcc
	s_cbranch_execz .LBB12_130
; %bb.129:
	v_lshrrev_b32_e32 v3, 4, v0
	v_and_b32_e32 v3, 4, v3
	ds_write_b32 v3, v1 offset:48
.LBB12_130:
	s_or_b64 exec, exec, s[0:1]
	v_cmp_gt_u32_e32 vcc, 2, v0
	s_waitcnt lgkmcnt(0)
	s_barrier
	s_and_saveexec_b64 s[2:3], vcc
	s_cbranch_execz .LBB12_132
; %bb.131:
	v_lshlrev_b32_e32 v1, 2, v2
	ds_read_b32 v3, v1 offset:48
	v_or_b32_e32 v1, 4, v1
	s_add_i32 s8, s8, 63
	v_and_b32_e32 v2, 1, v2
	s_lshr_b32 s0, s8, 6
	s_waitcnt lgkmcnt(0)
	ds_bpermute_b32 v1, v1, v3
	v_add_u32_e32 v2, 1, v2
	v_cmp_gt_u32_e32 vcc, s0, v2
	s_waitcnt lgkmcnt(0)
	v_cmp_lt_f32_e64 s[0:1], v3, v1
	s_and_b64 vcc, vcc, s[0:1]
	v_cndmask_b32_e32 v1, v3, v1, vcc
.LBB12_132:
	s_or_b64 exec, exec, s[2:3]
.LBB12_133:
	v_cmp_eq_u32_e64 s[0:1], 0, v0
	s_branch .LBB12_142
.LBB12_134:
	s_cmp_eq_u32 s33, 8
	s_cbranch_scc0 .LBB12_141
; %bb.135:
	s_mov_b32 s7, 0
	s_lshl_b32 s0, s6, 10
	s_mov_b32 s1, s7
	s_lshr_b64 s[2:3], s[70:71], 10
	s_lshl_b64 s[8:9], s[0:1], 2
	s_add_u32 s16, s68, s8
	s_addc_u32 s17, s69, s9
	s_cmp_lg_u64 s[2:3], s[6:7]
	s_cbranch_scc0 .LBB12_143
; %bb.136:
	v_lshlrev_b32_e32 v1, 2, v0
	global_load_dword v4, v1, s[16:17]
	global_load_dword v5, v1, s[16:17] offset:512
	global_load_dword v6, v1, s[16:17] offset:1024
	;; [unrolled: 1-line block ×7, first 2 shown]
	v_mbcnt_lo_u32_b32 v1, -1, 0
	v_mbcnt_hi_u32_b32 v2, -1, v1
	v_lshlrev_b32_e32 v3, 2, v2
	s_waitcnt vmcnt(6)
	v_cmp_lt_f32_e32 vcc, v4, v5
	v_cndmask_b32_e32 v1, v4, v5, vcc
	s_waitcnt vmcnt(5)
	v_cmp_lt_f32_e32 vcc, v1, v6
	v_cndmask_b32_e32 v1, v1, v6, vcc
	s_waitcnt vmcnt(4)
	v_cmp_lt_f32_e32 vcc, v1, v7
	v_cndmask_b32_e32 v1, v1, v7, vcc
	s_waitcnt vmcnt(3)
	v_cmp_lt_f32_e32 vcc, v1, v8
	v_cndmask_b32_e32 v1, v1, v8, vcc
	s_waitcnt vmcnt(2)
	v_cmp_lt_f32_e32 vcc, v1, v9
	v_cndmask_b32_e32 v1, v1, v9, vcc
	s_waitcnt vmcnt(1)
	v_cmp_lt_f32_e32 vcc, v1, v10
	v_cndmask_b32_e32 v1, v1, v10, vcc
	s_waitcnt vmcnt(0)
	v_cmp_lt_f32_e32 vcc, v1, v11
	v_cndmask_b32_e32 v1, v1, v11, vcc
	s_nop 1
	v_mov_b32_dpp v4, v1 quad_perm:[1,0,3,2] row_mask:0xf bank_mask:0xf bound_ctrl:1
	v_cmp_gt_f32_e32 vcc, v1, v4
	v_cndmask_b32_e32 v1, v4, v1, vcc
	s_nop 1
	v_mov_b32_dpp v4, v1 quad_perm:[2,3,0,1] row_mask:0xf bank_mask:0xf bound_ctrl:1
	v_cmp_gt_f32_e32 vcc, v1, v4
	v_cndmask_b32_e32 v1, v4, v1, vcc
	s_nop 1
	v_mov_b32_dpp v4, v1 row_ror:4 row_mask:0xf bank_mask:0xf bound_ctrl:1
	v_cmp_gt_f32_e32 vcc, v1, v4
	v_cndmask_b32_e32 v1, v4, v1, vcc
	s_nop 1
	v_mov_b32_dpp v4, v1 row_ror:8 row_mask:0xf bank_mask:0xf bound_ctrl:1
	v_cmp_gt_f32_e32 vcc, v1, v4
	v_cndmask_b32_e32 v1, v4, v1, vcc
	s_nop 1
	v_mov_b32_dpp v4, v1 row_bcast:15 row_mask:0xf bank_mask:0xf bound_ctrl:1
	v_cmp_gt_f32_e32 vcc, v1, v4
	v_cndmask_b32_e32 v1, v4, v1, vcc
	s_nop 1
	v_mov_b32_dpp v4, v1 row_bcast:31 row_mask:0xf bank_mask:0xf bound_ctrl:1
	v_cmp_gt_f32_e32 vcc, v1, v4
	v_cndmask_b32_e32 v1, v4, v1, vcc
	v_or_b32_e32 v4, 0xfc, v3
	ds_bpermute_b32 v1, v4, v1
	v_cmp_eq_u32_e32 vcc, 0, v2
	s_and_saveexec_b64 s[2:3], vcc
	s_cbranch_execz .LBB12_138
; %bb.137:
	v_lshrrev_b32_e32 v4, 4, v0
	v_and_b32_e32 v4, 4, v4
	s_waitcnt lgkmcnt(0)
	ds_write_b32 v4, v1 offset:40
.LBB12_138:
	s_or_b64 exec, exec, s[2:3]
	v_cmp_gt_u32_e32 vcc, 64, v0
	s_waitcnt lgkmcnt(0)
	s_barrier
	s_and_saveexec_b64 s[2:3], vcc
	s_cbranch_execz .LBB12_140
; %bb.139:
	v_and_b32_e32 v1, 1, v2
	v_lshlrev_b32_e32 v1, 2, v1
	ds_read_b32 v1, v1 offset:40
	v_or_b32_e32 v2, 4, v3
	s_waitcnt lgkmcnt(0)
	ds_bpermute_b32 v2, v2, v1
	s_waitcnt lgkmcnt(0)
	v_cmp_lt_f32_e32 vcc, v1, v2
	v_cndmask_b32_e32 v1, v1, v2, vcc
.LBB12_140:
	s_or_b64 exec, exec, s[2:3]
	s_branch .LBB12_165
.LBB12_141:
                                        ; implicit-def: $vgpr1
.LBB12_142:
	s_branch .LBB12_224
.LBB12_143:
                                        ; implicit-def: $vgpr1
	s_cbranch_execz .LBB12_165
; %bb.144:
	s_sub_i32 s20, s70, s0
	v_cmp_gt_u32_e32 vcc, s20, v0
                                        ; implicit-def: $vgpr2_vgpr3_vgpr4_vgpr5_vgpr6_vgpr7_vgpr8_vgpr9
	s_and_saveexec_b64 s[0:1], vcc
	s_cbranch_execz .LBB12_146
; %bb.145:
	v_lshlrev_b32_e32 v1, 2, v0
	global_load_dword v2, v1, s[16:17]
.LBB12_146:
	s_or_b64 exec, exec, s[0:1]
	v_or_b32_e32 v1, 0x80, v0
	v_cmp_gt_u32_e32 vcc, s20, v1
	s_and_saveexec_b64 s[0:1], vcc
	s_cbranch_execz .LBB12_148
; %bb.147:
	v_lshlrev_b32_e32 v1, 2, v0
	global_load_dword v3, v1, s[16:17] offset:512
.LBB12_148:
	s_or_b64 exec, exec, s[0:1]
	v_or_b32_e32 v1, 0x100, v0
	v_cmp_gt_u32_e64 s[0:1], s20, v1
	s_and_saveexec_b64 s[2:3], s[0:1]
	s_cbranch_execz .LBB12_150
; %bb.149:
	v_lshlrev_b32_e32 v1, 2, v0
	global_load_dword v4, v1, s[16:17] offset:1024
.LBB12_150:
	s_or_b64 exec, exec, s[2:3]
	v_or_b32_e32 v1, 0x180, v0
	v_cmp_gt_u32_e64 s[2:3], s20, v1
	s_and_saveexec_b64 s[8:9], s[2:3]
	s_cbranch_execz .LBB12_152
; %bb.151:
	v_lshlrev_b32_e32 v1, 2, v0
	global_load_dword v5, v1, s[16:17] offset:1536
.LBB12_152:
	s_or_b64 exec, exec, s[8:9]
	v_or_b32_e32 v1, 0x200, v0
	v_cmp_gt_u32_e64 s[8:9], s20, v1
	s_and_saveexec_b64 s[10:11], s[8:9]
	s_cbranch_execz .LBB12_154
; %bb.153:
	v_lshlrev_b32_e32 v1, 2, v0
	global_load_dword v6, v1, s[16:17] offset:2048
.LBB12_154:
	s_or_b64 exec, exec, s[10:11]
	v_or_b32_e32 v1, 0x280, v0
	v_cmp_gt_u32_e64 s[10:11], s20, v1
	s_and_saveexec_b64 s[12:13], s[10:11]
	s_cbranch_execz .LBB12_156
; %bb.155:
	v_lshlrev_b32_e32 v1, 2, v0
	global_load_dword v7, v1, s[16:17] offset:2560
.LBB12_156:
	s_or_b64 exec, exec, s[12:13]
	v_or_b32_e32 v1, 0x300, v0
	v_cmp_gt_u32_e64 s[12:13], s20, v1
	s_and_saveexec_b64 s[14:15], s[12:13]
	s_cbranch_execz .LBB12_158
; %bb.157:
	v_lshlrev_b32_e32 v1, 2, v0
	global_load_dword v8, v1, s[16:17] offset:3072
.LBB12_158:
	s_or_b64 exec, exec, s[14:15]
	v_or_b32_e32 v1, 0x380, v0
	v_cmp_gt_u32_e64 s[14:15], s20, v1
	s_and_saveexec_b64 s[18:19], s[14:15]
	s_cbranch_execz .LBB12_160
; %bb.159:
	v_lshlrev_b32_e32 v1, 2, v0
	global_load_dword v9, v1, s[16:17] offset:3584
.LBB12_160:
	s_or_b64 exec, exec, s[18:19]
	s_waitcnt vmcnt(0)
	v_cmp_lt_f32_e64 s[16:17], v2, v3
	s_and_b64 vcc, vcc, s[16:17]
	v_cndmask_b32_e32 v1, v2, v3, vcc
	v_cmp_lt_f32_e32 vcc, v1, v4
	s_and_b64 vcc, s[0:1], vcc
	v_cndmask_b32_e32 v1, v1, v4, vcc
	v_cmp_lt_f32_e32 vcc, v1, v5
	s_and_b64 vcc, s[2:3], vcc
	;; [unrolled: 3-line block ×5, first 2 shown]
	v_cndmask_b32_e32 v1, v1, v8, vcc
	v_mbcnt_lo_u32_b32 v2, -1, 0
	v_cmp_lt_f32_e32 vcc, v1, v9
	v_mbcnt_hi_u32_b32 v2, -1, v2
	s_and_b64 vcc, s[14:15], vcc
	v_and_b32_e32 v3, 63, v2
	v_cndmask_b32_e32 v1, v1, v9, vcc
	v_cmp_ne_u32_e32 vcc, 63, v3
	v_addc_co_u32_e32 v4, vcc, 0, v2, vcc
	v_lshlrev_b32_e32 v4, 2, v4
	ds_bpermute_b32 v4, v4, v1
	s_min_u32 s8, s20, 0x80
	v_and_b32_e32 v5, 64, v0
	v_sub_u32_e64 v5, s8, v5 clamp
	v_add_u32_e32 v6, 1, v3
	s_waitcnt lgkmcnt(0)
	v_cmp_lt_f32_e32 vcc, v1, v4
	v_cmp_gt_u32_e64 s[0:1], 62, v3
	v_cndmask_b32_e32 v4, v1, v4, vcc
	v_cmp_lt_u32_e32 vcc, v6, v5
	v_cndmask_b32_e64 v6, 0, 1, s[0:1]
	v_lshlrev_b32_e32 v6, 1, v6
	v_cndmask_b32_e32 v4, v1, v4, vcc
	v_add_lshl_u32 v6, v6, v2, 2
	ds_bpermute_b32 v6, v6, v4
	v_add_u32_e32 v7, 2, v3
	s_waitcnt lgkmcnt(0)
	v_cmp_lt_f32_e64 s[0:1], v4, v6
	v_cndmask_b32_e64 v6, v4, v6, s[0:1]
	v_cmp_lt_u32_e64 s[0:1], v7, v5
	v_cndmask_b32_e64 v4, v4, v6, s[0:1]
	v_cmp_gt_u32_e64 s[0:1], 60, v3
	v_cndmask_b32_e64 v6, 0, 1, s[0:1]
	v_lshlrev_b32_e32 v6, 2, v6
	v_add_lshl_u32 v6, v6, v2, 2
	ds_bpermute_b32 v6, v6, v4
	v_add_u32_e32 v7, 4, v3
	s_waitcnt lgkmcnt(0)
	v_cmp_lt_f32_e64 s[0:1], v4, v6
	v_cndmask_b32_e64 v6, v4, v6, s[0:1]
	v_cmp_lt_u32_e64 s[0:1], v7, v5
	v_cndmask_b32_e64 v4, v4, v6, s[0:1]
	v_cmp_gt_u32_e64 s[0:1], 56, v3
	v_cndmask_b32_e64 v6, 0, 1, s[0:1]
	v_lshlrev_b32_e32 v6, 3, v6
	v_add_lshl_u32 v6, v6, v2, 2
	ds_bpermute_b32 v6, v6, v4
	v_add_u32_e32 v7, 8, v3
	s_waitcnt lgkmcnt(0)
	v_cmp_lt_f32_e64 s[0:1], v4, v6
	v_cndmask_b32_e64 v6, v4, v6, s[0:1]
	v_cmp_lt_u32_e64 s[0:1], v7, v5
	v_cndmask_b32_e64 v4, v4, v6, s[0:1]
	v_cmp_gt_u32_e64 s[0:1], 48, v3
	v_cndmask_b32_e64 v6, 0, 1, s[0:1]
	v_lshlrev_b32_e32 v6, 4, v6
	v_add_lshl_u32 v6, v6, v2, 2
	ds_bpermute_b32 v6, v6, v4
	v_add_u32_e32 v7, 16, v3
	s_waitcnt lgkmcnt(0)
	v_cmp_lt_f32_e64 s[0:1], v4, v6
	v_cndmask_b32_e64 v6, v4, v6, s[0:1]
	v_cmp_lt_u32_e64 s[0:1], v7, v5
	v_cndmask_b32_e64 v4, v4, v6, s[0:1]
	v_cmp_gt_u32_e64 s[0:1], 32, v3
	v_cndmask_b32_e64 v6, 0, 1, s[0:1]
	v_lshlrev_b32_e32 v6, 5, v6
	v_add_lshl_u32 v6, v6, v2, 2
	ds_bpermute_b32 v6, v6, v4
	v_add_u32_e32 v3, 32, v3
	v_cmp_lt_u32_e64 s[0:1], v3, v5
	s_waitcnt lgkmcnt(0)
	v_cmp_lt_f32_e64 s[2:3], v4, v6
	s_and_b64 s[0:1], s[0:1], s[2:3]
	v_cndmask_b32_e64 v3, v4, v6, s[0:1]
	v_cndmask_b32_e32 v1, v1, v3, vcc
	v_cmp_eq_u32_e32 vcc, 0, v2
	s_and_saveexec_b64 s[0:1], vcc
	s_cbranch_execz .LBB12_162
; %bb.161:
	v_lshrrev_b32_e32 v3, 4, v0
	v_and_b32_e32 v3, 4, v3
	ds_write_b32 v3, v1 offset:48
.LBB12_162:
	s_or_b64 exec, exec, s[0:1]
	v_cmp_gt_u32_e32 vcc, 2, v0
	s_waitcnt lgkmcnt(0)
	s_barrier
	s_and_saveexec_b64 s[2:3], vcc
	s_cbranch_execz .LBB12_164
; %bb.163:
	v_lshlrev_b32_e32 v1, 2, v2
	ds_read_b32 v3, v1 offset:48
	v_or_b32_e32 v1, 4, v1
	s_add_i32 s8, s8, 63
	v_and_b32_e32 v2, 1, v2
	s_lshr_b32 s0, s8, 6
	s_waitcnt lgkmcnt(0)
	ds_bpermute_b32 v1, v1, v3
	v_add_u32_e32 v2, 1, v2
	v_cmp_gt_u32_e32 vcc, s0, v2
	s_waitcnt lgkmcnt(0)
	v_cmp_lt_f32_e64 s[0:1], v3, v1
	s_and_b64 vcc, vcc, s[0:1]
	v_cndmask_b32_e32 v1, v3, v1, vcc
.LBB12_164:
	s_or_b64 exec, exec, s[2:3]
.LBB12_165:
	v_cmp_eq_u32_e64 s[0:1], 0, v0
	s_branch .LBB12_224
.LBB12_166:
	s_cmp_gt_i32 s33, 1
	s_cbranch_scc0 .LBB12_175
; %bb.167:
	s_cmp_gt_i32 s33, 3
	s_cbranch_scc0 .LBB12_176
; %bb.168:
	s_cmp_eq_u32 s33, 4
	s_cbranch_scc0 .LBB12_177
; %bb.169:
	s_mov_b32 s7, 0
	s_lshl_b32 s0, s6, 9
	s_mov_b32 s1, s7
	s_lshr_b64 s[2:3], s[70:71], 9
	s_lshl_b64 s[8:9], s[0:1], 2
	s_add_u32 s8, s68, s8
	s_addc_u32 s9, s69, s9
	s_cmp_lg_u64 s[2:3], s[6:7]
	s_cbranch_scc0 .LBB12_179
; %bb.170:
	v_lshlrev_b32_e32 v1, 2, v0
	global_load_dword v4, v1, s[8:9]
	global_load_dword v5, v1, s[8:9] offset:512
	global_load_dword v6, v1, s[8:9] offset:1024
	;; [unrolled: 1-line block ×3, first 2 shown]
	v_mbcnt_lo_u32_b32 v1, -1, 0
	v_mbcnt_hi_u32_b32 v2, -1, v1
	v_lshlrev_b32_e32 v3, 2, v2
	s_waitcnt vmcnt(2)
	v_cmp_lt_f32_e32 vcc, v4, v5
	v_cndmask_b32_e32 v1, v4, v5, vcc
	s_waitcnt vmcnt(1)
	v_cmp_lt_f32_e32 vcc, v1, v6
	v_cndmask_b32_e32 v1, v1, v6, vcc
	;; [unrolled: 3-line block ×3, first 2 shown]
	s_nop 1
	v_mov_b32_dpp v4, v1 quad_perm:[1,0,3,2] row_mask:0xf bank_mask:0xf bound_ctrl:1
	v_cmp_gt_f32_e32 vcc, v1, v4
	v_cndmask_b32_e32 v1, v4, v1, vcc
	s_nop 1
	v_mov_b32_dpp v4, v1 quad_perm:[2,3,0,1] row_mask:0xf bank_mask:0xf bound_ctrl:1
	v_cmp_gt_f32_e32 vcc, v1, v4
	v_cndmask_b32_e32 v1, v4, v1, vcc
	s_nop 1
	v_mov_b32_dpp v4, v1 row_ror:4 row_mask:0xf bank_mask:0xf bound_ctrl:1
	v_cmp_gt_f32_e32 vcc, v1, v4
	v_cndmask_b32_e32 v1, v4, v1, vcc
	s_nop 1
	v_mov_b32_dpp v4, v1 row_ror:8 row_mask:0xf bank_mask:0xf bound_ctrl:1
	v_cmp_gt_f32_e32 vcc, v1, v4
	v_cndmask_b32_e32 v1, v4, v1, vcc
	s_nop 1
	v_mov_b32_dpp v4, v1 row_bcast:15 row_mask:0xf bank_mask:0xf bound_ctrl:1
	v_cmp_gt_f32_e32 vcc, v1, v4
	v_cndmask_b32_e32 v1, v4, v1, vcc
	s_nop 1
	v_mov_b32_dpp v4, v1 row_bcast:31 row_mask:0xf bank_mask:0xf bound_ctrl:1
	v_cmp_gt_f32_e32 vcc, v1, v4
	v_cndmask_b32_e32 v1, v4, v1, vcc
	v_or_b32_e32 v4, 0xfc, v3
	ds_bpermute_b32 v1, v4, v1
	v_cmp_eq_u32_e32 vcc, 0, v2
	s_and_saveexec_b64 s[2:3], vcc
	s_cbranch_execz .LBB12_172
; %bb.171:
	v_lshrrev_b32_e32 v4, 4, v0
	v_and_b32_e32 v4, 4, v4
	s_waitcnt lgkmcnt(0)
	ds_write_b32 v4, v1 offset:32
.LBB12_172:
	s_or_b64 exec, exec, s[2:3]
	v_cmp_gt_u32_e32 vcc, 64, v0
	s_waitcnt lgkmcnt(0)
	s_barrier
	s_and_saveexec_b64 s[2:3], vcc
	s_cbranch_execz .LBB12_174
; %bb.173:
	v_and_b32_e32 v1, 1, v2
	v_lshlrev_b32_e32 v1, 2, v1
	ds_read_b32 v1, v1 offset:32
	v_or_b32_e32 v2, 4, v3
	s_waitcnt lgkmcnt(0)
	ds_bpermute_b32 v2, v2, v1
	s_waitcnt lgkmcnt(0)
	v_cmp_lt_f32_e32 vcc, v1, v2
	v_cndmask_b32_e32 v1, v1, v2, vcc
.LBB12_174:
	s_or_b64 exec, exec, s[2:3]
	s_mov_b64 s[2:3], 0
	s_branch .LBB12_180
.LBB12_175:
                                        ; implicit-def: $vgpr1
	s_cbranch_execnz .LBB12_215
	s_branch .LBB12_224
.LBB12_176:
                                        ; implicit-def: $vgpr1
	s_cbranch_execz .LBB12_178
	s_branch .LBB12_195
.LBB12_177:
                                        ; implicit-def: $vgpr1
.LBB12_178:
	s_branch .LBB12_224
.LBB12_179:
	s_mov_b64 s[2:3], -1
                                        ; implicit-def: $vgpr1
.LBB12_180:
	s_and_b64 vcc, exec, s[2:3]
	s_cbranch_vccz .LBB12_194
; %bb.181:
	s_sub_i32 s12, s70, s0
	v_cmp_gt_u32_e32 vcc, s12, v0
                                        ; implicit-def: $vgpr2_vgpr3_vgpr4_vgpr5
	s_and_saveexec_b64 s[0:1], vcc
	s_cbranch_execz .LBB12_183
; %bb.182:
	v_lshlrev_b32_e32 v1, 2, v0
	global_load_dword v2, v1, s[8:9]
.LBB12_183:
	s_or_b64 exec, exec, s[0:1]
	v_or_b32_e32 v1, 0x80, v0
	v_cmp_gt_u32_e32 vcc, s12, v1
	s_and_saveexec_b64 s[0:1], vcc
	s_cbranch_execz .LBB12_185
; %bb.184:
	v_lshlrev_b32_e32 v1, 2, v0
	global_load_dword v3, v1, s[8:9] offset:512
.LBB12_185:
	s_or_b64 exec, exec, s[0:1]
	v_or_b32_e32 v1, 0x100, v0
	v_cmp_gt_u32_e64 s[0:1], s12, v1
	s_and_saveexec_b64 s[2:3], s[0:1]
	s_cbranch_execz .LBB12_187
; %bb.186:
	v_lshlrev_b32_e32 v1, 2, v0
	global_load_dword v4, v1, s[8:9] offset:1024
.LBB12_187:
	s_or_b64 exec, exec, s[2:3]
	v_or_b32_e32 v1, 0x180, v0
	v_cmp_gt_u32_e64 s[2:3], s12, v1
	s_and_saveexec_b64 s[10:11], s[2:3]
	s_cbranch_execz .LBB12_189
; %bb.188:
	v_lshlrev_b32_e32 v1, 2, v0
	global_load_dword v5, v1, s[8:9] offset:1536
.LBB12_189:
	s_or_b64 exec, exec, s[10:11]
	s_waitcnt vmcnt(0)
	v_cmp_lt_f32_e64 s[8:9], v2, v3
	s_and_b64 vcc, vcc, s[8:9]
	v_cndmask_b32_e32 v1, v2, v3, vcc
	v_cmp_lt_f32_e32 vcc, v1, v4
	s_and_b64 vcc, s[0:1], vcc
	v_cndmask_b32_e32 v1, v1, v4, vcc
	v_mbcnt_lo_u32_b32 v2, -1, 0
	v_cmp_lt_f32_e32 vcc, v1, v5
	v_mbcnt_hi_u32_b32 v2, -1, v2
	s_and_b64 vcc, s[2:3], vcc
	v_and_b32_e32 v3, 63, v2
	v_cndmask_b32_e32 v1, v1, v5, vcc
	v_cmp_ne_u32_e32 vcc, 63, v3
	v_addc_co_u32_e32 v4, vcc, 0, v2, vcc
	v_lshlrev_b32_e32 v4, 2, v4
	ds_bpermute_b32 v4, v4, v1
	s_min_u32 s8, s12, 0x80
	v_and_b32_e32 v5, 64, v0
	v_sub_u32_e64 v5, s8, v5 clamp
	v_add_u32_e32 v6, 1, v3
	s_waitcnt lgkmcnt(0)
	v_cmp_lt_f32_e32 vcc, v1, v4
	v_cmp_gt_u32_e64 s[0:1], 62, v3
	v_cndmask_b32_e32 v4, v1, v4, vcc
	v_cmp_lt_u32_e32 vcc, v6, v5
	v_cndmask_b32_e64 v6, 0, 1, s[0:1]
	v_lshlrev_b32_e32 v6, 1, v6
	v_cndmask_b32_e32 v4, v1, v4, vcc
	v_add_lshl_u32 v6, v6, v2, 2
	ds_bpermute_b32 v6, v6, v4
	v_add_u32_e32 v7, 2, v3
	s_waitcnt lgkmcnt(0)
	v_cmp_lt_f32_e64 s[0:1], v4, v6
	v_cndmask_b32_e64 v6, v4, v6, s[0:1]
	v_cmp_lt_u32_e64 s[0:1], v7, v5
	v_cndmask_b32_e64 v4, v4, v6, s[0:1]
	v_cmp_gt_u32_e64 s[0:1], 60, v3
	v_cndmask_b32_e64 v6, 0, 1, s[0:1]
	v_lshlrev_b32_e32 v6, 2, v6
	v_add_lshl_u32 v6, v6, v2, 2
	ds_bpermute_b32 v6, v6, v4
	v_add_u32_e32 v7, 4, v3
	s_waitcnt lgkmcnt(0)
	v_cmp_lt_f32_e64 s[0:1], v4, v6
	v_cndmask_b32_e64 v6, v4, v6, s[0:1]
	v_cmp_lt_u32_e64 s[0:1], v7, v5
	v_cndmask_b32_e64 v4, v4, v6, s[0:1]
	v_cmp_gt_u32_e64 s[0:1], 56, v3
	v_cndmask_b32_e64 v6, 0, 1, s[0:1]
	v_lshlrev_b32_e32 v6, 3, v6
	;; [unrolled: 11-line block ×4, first 2 shown]
	v_add_lshl_u32 v6, v6, v2, 2
	ds_bpermute_b32 v6, v6, v4
	v_add_u32_e32 v3, 32, v3
	v_cmp_lt_u32_e64 s[0:1], v3, v5
	s_waitcnt lgkmcnt(0)
	v_cmp_lt_f32_e64 s[2:3], v4, v6
	s_and_b64 s[0:1], s[0:1], s[2:3]
	v_cndmask_b32_e64 v3, v4, v6, s[0:1]
	v_cndmask_b32_e32 v1, v1, v3, vcc
	v_cmp_eq_u32_e32 vcc, 0, v2
	s_and_saveexec_b64 s[0:1], vcc
	s_cbranch_execz .LBB12_191
; %bb.190:
	v_lshrrev_b32_e32 v3, 4, v0
	v_and_b32_e32 v3, 4, v3
	ds_write_b32 v3, v1 offset:48
.LBB12_191:
	s_or_b64 exec, exec, s[0:1]
	v_cmp_gt_u32_e32 vcc, 2, v0
	s_waitcnt lgkmcnt(0)
	s_barrier
	s_and_saveexec_b64 s[2:3], vcc
	s_cbranch_execz .LBB12_193
; %bb.192:
	v_lshlrev_b32_e32 v1, 2, v2
	ds_read_b32 v3, v1 offset:48
	v_or_b32_e32 v1, 4, v1
	s_add_i32 s8, s8, 63
	v_and_b32_e32 v2, 1, v2
	s_lshr_b32 s0, s8, 6
	s_waitcnt lgkmcnt(0)
	ds_bpermute_b32 v1, v1, v3
	v_add_u32_e32 v2, 1, v2
	v_cmp_gt_u32_e32 vcc, s0, v2
	s_waitcnt lgkmcnt(0)
	v_cmp_lt_f32_e64 s[0:1], v3, v1
	s_and_b64 vcc, vcc, s[0:1]
	v_cndmask_b32_e32 v1, v3, v1, vcc
.LBB12_193:
	s_or_b64 exec, exec, s[2:3]
.LBB12_194:
	v_cmp_eq_u32_e64 s[0:1], 0, v0
	s_branch .LBB12_178
.LBB12_195:
	s_cmp_eq_u32 s33, 2
	s_cbranch_scc0 .LBB12_202
; %bb.196:
	s_mov_b32 s7, 0
	s_lshl_b32 s2, s6, 8
	s_mov_b32 s3, s7
	s_lshr_b64 s[8:9], s[70:71], 8
	s_lshl_b64 s[0:1], s[2:3], 2
	s_add_u32 s0, s68, s0
	s_addc_u32 s1, s69, s1
	s_cmp_lg_u64 s[8:9], s[6:7]
	s_cbranch_scc0 .LBB12_203
; %bb.197:
	v_lshlrev_b32_e32 v1, 2, v0
	global_load_dword v4, v1, s[0:1]
	global_load_dword v5, v1, s[0:1] offset:512
	v_mbcnt_lo_u32_b32 v1, -1, 0
	v_mbcnt_hi_u32_b32 v2, -1, v1
	v_lshlrev_b32_e32 v3, 2, v2
	s_waitcnt vmcnt(0)
	v_cmp_lt_f32_e32 vcc, v4, v5
	v_cndmask_b32_e32 v1, v4, v5, vcc
	s_nop 1
	v_mov_b32_dpp v4, v1 quad_perm:[1,0,3,2] row_mask:0xf bank_mask:0xf bound_ctrl:1
	v_cmp_gt_f32_e32 vcc, v1, v4
	v_cndmask_b32_e32 v1, v4, v1, vcc
	s_nop 1
	v_mov_b32_dpp v4, v1 quad_perm:[2,3,0,1] row_mask:0xf bank_mask:0xf bound_ctrl:1
	v_cmp_gt_f32_e32 vcc, v1, v4
	v_cndmask_b32_e32 v1, v4, v1, vcc
	s_nop 1
	v_mov_b32_dpp v4, v1 row_ror:4 row_mask:0xf bank_mask:0xf bound_ctrl:1
	v_cmp_gt_f32_e32 vcc, v1, v4
	v_cndmask_b32_e32 v1, v4, v1, vcc
	s_nop 1
	v_mov_b32_dpp v4, v1 row_ror:8 row_mask:0xf bank_mask:0xf bound_ctrl:1
	v_cmp_gt_f32_e32 vcc, v1, v4
	v_cndmask_b32_e32 v1, v4, v1, vcc
	s_nop 1
	v_mov_b32_dpp v4, v1 row_bcast:15 row_mask:0xf bank_mask:0xf bound_ctrl:1
	v_cmp_gt_f32_e32 vcc, v1, v4
	v_cndmask_b32_e32 v1, v4, v1, vcc
	s_nop 1
	v_mov_b32_dpp v4, v1 row_bcast:31 row_mask:0xf bank_mask:0xf bound_ctrl:1
	v_cmp_gt_f32_e32 vcc, v1, v4
	v_cndmask_b32_e32 v1, v4, v1, vcc
	v_or_b32_e32 v4, 0xfc, v3
	ds_bpermute_b32 v1, v4, v1
	v_cmp_eq_u32_e32 vcc, 0, v2
	s_and_saveexec_b64 s[8:9], vcc
	s_cbranch_execz .LBB12_199
; %bb.198:
	v_lshrrev_b32_e32 v4, 4, v0
	v_and_b32_e32 v4, 4, v4
	s_waitcnt lgkmcnt(0)
	ds_write_b32 v4, v1 offset:16
.LBB12_199:
	s_or_b64 exec, exec, s[8:9]
	v_cmp_gt_u32_e32 vcc, 64, v0
	s_waitcnt lgkmcnt(0)
	s_barrier
	s_and_saveexec_b64 s[8:9], vcc
	s_cbranch_execz .LBB12_201
; %bb.200:
	v_and_b32_e32 v1, 1, v2
	v_lshlrev_b32_e32 v1, 2, v1
	ds_read_b32 v1, v1 offset:16
	v_or_b32_e32 v2, 4, v3
	s_waitcnt lgkmcnt(0)
	ds_bpermute_b32 v2, v2, v1
	s_waitcnt lgkmcnt(0)
	v_cmp_lt_f32_e32 vcc, v1, v2
	v_cndmask_b32_e32 v1, v1, v2, vcc
.LBB12_201:
	s_or_b64 exec, exec, s[8:9]
	s_mov_b64 s[8:9], 0
	s_branch .LBB12_204
.LBB12_202:
                                        ; implicit-def: $vgpr1
	s_branch .LBB12_224
.LBB12_203:
	s_mov_b64 s[8:9], -1
                                        ; implicit-def: $vgpr1
.LBB12_204:
	s_and_b64 vcc, exec, s[8:9]
	s_cbranch_vccz .LBB12_214
; %bb.205:
	s_sub_i32 s8, s70, s2
	v_cmp_gt_u32_e32 vcc, s8, v0
                                        ; implicit-def: $vgpr2_vgpr3
	s_and_saveexec_b64 s[2:3], vcc
	s_cbranch_execz .LBB12_207
; %bb.206:
	v_lshlrev_b32_e32 v1, 2, v0
	global_load_dword v2, v1, s[0:1]
.LBB12_207:
	s_or_b64 exec, exec, s[2:3]
	v_or_b32_e32 v1, 0x80, v0
	v_cmp_gt_u32_e32 vcc, s8, v1
	s_and_saveexec_b64 s[2:3], vcc
	s_cbranch_execz .LBB12_209
; %bb.208:
	v_lshlrev_b32_e32 v1, 2, v0
	global_load_dword v3, v1, s[0:1] offset:512
.LBB12_209:
	s_or_b64 exec, exec, s[2:3]
	s_waitcnt vmcnt(0)
	v_cmp_lt_f32_e64 s[0:1], v2, v3
	s_and_b64 vcc, vcc, s[0:1]
	v_cndmask_b32_e32 v1, v2, v3, vcc
	v_mbcnt_lo_u32_b32 v2, -1, 0
	v_mbcnt_hi_u32_b32 v2, -1, v2
	v_and_b32_e32 v3, 63, v2
	v_cmp_ne_u32_e32 vcc, 63, v3
	v_addc_co_u32_e32 v4, vcc, 0, v2, vcc
	v_lshlrev_b32_e32 v4, 2, v4
	ds_bpermute_b32 v4, v4, v1
	s_min_u32 s8, s8, 0x80
	v_and_b32_e32 v5, 64, v0
	v_sub_u32_e64 v5, s8, v5 clamp
	v_add_u32_e32 v6, 1, v3
	s_waitcnt lgkmcnt(0)
	v_cmp_lt_f32_e32 vcc, v1, v4
	v_cmp_gt_u32_e64 s[0:1], 62, v3
	v_cndmask_b32_e32 v4, v1, v4, vcc
	v_cmp_lt_u32_e32 vcc, v6, v5
	v_cndmask_b32_e64 v6, 0, 1, s[0:1]
	v_lshlrev_b32_e32 v6, 1, v6
	v_cndmask_b32_e32 v4, v1, v4, vcc
	v_add_lshl_u32 v6, v6, v2, 2
	ds_bpermute_b32 v6, v6, v4
	v_add_u32_e32 v7, 2, v3
	s_waitcnt lgkmcnt(0)
	v_cmp_lt_f32_e64 s[0:1], v4, v6
	v_cndmask_b32_e64 v6, v4, v6, s[0:1]
	v_cmp_lt_u32_e64 s[0:1], v7, v5
	v_cndmask_b32_e64 v4, v4, v6, s[0:1]
	v_cmp_gt_u32_e64 s[0:1], 60, v3
	v_cndmask_b32_e64 v6, 0, 1, s[0:1]
	v_lshlrev_b32_e32 v6, 2, v6
	v_add_lshl_u32 v6, v6, v2, 2
	ds_bpermute_b32 v6, v6, v4
	v_add_u32_e32 v7, 4, v3
	s_waitcnt lgkmcnt(0)
	v_cmp_lt_f32_e64 s[0:1], v4, v6
	v_cndmask_b32_e64 v6, v4, v6, s[0:1]
	v_cmp_lt_u32_e64 s[0:1], v7, v5
	v_cndmask_b32_e64 v4, v4, v6, s[0:1]
	v_cmp_gt_u32_e64 s[0:1], 56, v3
	v_cndmask_b32_e64 v6, 0, 1, s[0:1]
	v_lshlrev_b32_e32 v6, 3, v6
	;; [unrolled: 11-line block ×4, first 2 shown]
	v_add_lshl_u32 v6, v6, v2, 2
	ds_bpermute_b32 v6, v6, v4
	v_add_u32_e32 v3, 32, v3
	v_cmp_lt_u32_e64 s[0:1], v3, v5
	s_waitcnt lgkmcnt(0)
	v_cmp_lt_f32_e64 s[2:3], v4, v6
	s_and_b64 s[0:1], s[0:1], s[2:3]
	v_cndmask_b32_e64 v3, v4, v6, s[0:1]
	v_cndmask_b32_e32 v1, v1, v3, vcc
	v_cmp_eq_u32_e32 vcc, 0, v2
	s_and_saveexec_b64 s[0:1], vcc
	s_cbranch_execz .LBB12_211
; %bb.210:
	v_lshrrev_b32_e32 v3, 4, v0
	v_and_b32_e32 v3, 4, v3
	ds_write_b32 v3, v1 offset:48
.LBB12_211:
	s_or_b64 exec, exec, s[0:1]
	v_cmp_gt_u32_e32 vcc, 2, v0
	s_waitcnt lgkmcnt(0)
	s_barrier
	s_and_saveexec_b64 s[2:3], vcc
	s_cbranch_execz .LBB12_213
; %bb.212:
	v_lshlrev_b32_e32 v1, 2, v2
	ds_read_b32 v3, v1 offset:48
	v_or_b32_e32 v1, 4, v1
	s_add_i32 s8, s8, 63
	v_and_b32_e32 v2, 1, v2
	s_lshr_b32 s0, s8, 6
	s_waitcnt lgkmcnt(0)
	ds_bpermute_b32 v1, v1, v3
	v_add_u32_e32 v2, 1, v2
	v_cmp_gt_u32_e32 vcc, s0, v2
	s_waitcnt lgkmcnt(0)
	v_cmp_lt_f32_e64 s[0:1], v3, v1
	s_and_b64 vcc, vcc, s[0:1]
	v_cndmask_b32_e32 v1, v3, v1, vcc
.LBB12_213:
	s_or_b64 exec, exec, s[2:3]
.LBB12_214:
	v_cmp_eq_u32_e64 s[0:1], 0, v0
	s_branch .LBB12_224
.LBB12_215:
	s_cmp_eq_u32 s33, 1
	s_cbranch_scc0 .LBB12_223
; %bb.216:
	s_mov_b32 s1, 0
	s_lshl_b32 s0, s6, 7
	s_mov_b32 s7, s1
	s_lshr_b64 s[2:3], s[70:71], 7
	s_cmp_lg_u64 s[2:3], s[6:7]
	v_mbcnt_lo_u32_b32 v2, -1, 0
	s_cbranch_scc0 .LBB12_227
; %bb.217:
	s_lshl_b64 s[2:3], s[0:1], 2
	s_add_u32 s2, s68, s2
	s_addc_u32 s3, s69, s3
	v_lshlrev_b32_e32 v1, 2, v0
	global_load_dword v1, v1, s[2:3]
	v_mbcnt_hi_u32_b32 v3, -1, v2
	v_lshlrev_b32_e32 v4, 2, v3
	s_waitcnt vmcnt(0)
	v_mov_b32_dpp v5, v1 quad_perm:[1,0,3,2] row_mask:0xf bank_mask:0xf bound_ctrl:1
	v_cmp_gt_f32_e32 vcc, v1, v5
	v_cndmask_b32_e32 v1, v5, v1, vcc
	s_nop 1
	v_mov_b32_dpp v5, v1 quad_perm:[2,3,0,1] row_mask:0xf bank_mask:0xf bound_ctrl:1
	v_cmp_gt_f32_e32 vcc, v1, v5
	v_cndmask_b32_e32 v1, v5, v1, vcc
	s_nop 1
	v_mov_b32_dpp v5, v1 row_ror:4 row_mask:0xf bank_mask:0xf bound_ctrl:1
	v_cmp_gt_f32_e32 vcc, v1, v5
	v_cndmask_b32_e32 v1, v5, v1, vcc
	s_nop 1
	v_mov_b32_dpp v5, v1 row_ror:8 row_mask:0xf bank_mask:0xf bound_ctrl:1
	v_cmp_gt_f32_e32 vcc, v1, v5
	v_cndmask_b32_e32 v1, v5, v1, vcc
	s_nop 1
	v_mov_b32_dpp v5, v1 row_bcast:15 row_mask:0xf bank_mask:0xf bound_ctrl:1
	v_cmp_gt_f32_e32 vcc, v1, v5
	v_cndmask_b32_e32 v1, v5, v1, vcc
	s_nop 1
	v_mov_b32_dpp v5, v1 row_bcast:31 row_mask:0xf bank_mask:0xf bound_ctrl:1
	v_cmp_gt_f32_e32 vcc, v1, v5
	v_cndmask_b32_e32 v1, v5, v1, vcc
	v_or_b32_e32 v5, 0xfc, v4
	ds_bpermute_b32 v1, v5, v1
	v_cmp_eq_u32_e32 vcc, 0, v3
	s_and_saveexec_b64 s[2:3], vcc
	s_cbranch_execz .LBB12_219
; %bb.218:
	v_lshrrev_b32_e32 v5, 4, v0
	v_and_b32_e32 v5, 4, v5
	s_waitcnt lgkmcnt(0)
	ds_write_b32 v5, v1 offset:8
.LBB12_219:
	s_or_b64 exec, exec, s[2:3]
	v_cmp_gt_u32_e32 vcc, 64, v0
	s_waitcnt lgkmcnt(0)
	s_barrier
	s_and_saveexec_b64 s[2:3], vcc
	s_cbranch_execz .LBB12_221
; %bb.220:
	v_and_b32_e32 v1, 1, v3
	v_lshlrev_b32_e32 v1, 2, v1
	ds_read_b32 v1, v1 offset:8
	v_or_b32_e32 v3, 4, v4
	s_waitcnt lgkmcnt(0)
	ds_bpermute_b32 v3, v3, v1
	s_waitcnt lgkmcnt(0)
	v_cmp_lt_f32_e32 vcc, v1, v3
	v_cndmask_b32_e32 v1, v1, v3, vcc
.LBB12_221:
	s_or_b64 exec, exec, s[2:3]
.LBB12_222:
	v_cmp_eq_u32_e64 s[0:1], 0, v0
	s_and_saveexec_b64 s[2:3], s[0:1]
	s_cbranch_execnz .LBB12_225
	s_branch .LBB12_226
.LBB12_223:
                                        ; implicit-def: $vgpr1
                                        ; implicit-def: $sgpr6_sgpr7
.LBB12_224:
	s_and_saveexec_b64 s[2:3], s[0:1]
	s_cbranch_execz .LBB12_226
.LBB12_225:
	s_load_dwordx2 s[0:1], s[4:5], 0x18
	s_load_dword s8, s[4:5], 0x20
	s_lshl_b64 s[2:3], s[6:7], 2
	v_mov_b32_e32 v0, 0
	s_waitcnt lgkmcnt(0)
	s_add_u32 s0, s0, s2
	s_addc_u32 s1, s1, s3
	v_mov_b32_e32 v2, s8
	s_cmp_eq_u64 s[70:71], 0
	v_cmp_lt_f32_e32 vcc, s8, v1
	v_cndmask_b32_e32 v1, v2, v1, vcc
	s_cselect_b64 vcc, -1, 0
	v_cndmask_b32_e32 v1, v1, v2, vcc
	global_store_dword v0, v1, s[0:1]
.LBB12_226:
	s_endpgm
.LBB12_227:
                                        ; implicit-def: $vgpr1
	s_cbranch_execz .LBB12_222
; %bb.228:
	s_sub_i32 s8, s70, s0
	v_cmp_gt_u32_e32 vcc, s8, v0
                                        ; implicit-def: $vgpr1
	s_and_saveexec_b64 s[2:3], vcc
	s_cbranch_execz .LBB12_230
; %bb.229:
	s_lshl_b64 s[0:1], s[0:1], 2
	s_add_u32 s0, s68, s0
	s_addc_u32 s1, s69, s1
	v_lshlrev_b32_e32 v1, 2, v0
	global_load_dword v1, v1, s[0:1]
.LBB12_230:
	s_or_b64 exec, exec, s[2:3]
	v_mbcnt_hi_u32_b32 v2, -1, v2
	v_and_b32_e32 v3, 63, v2
	v_cmp_ne_u32_e32 vcc, 63, v3
	v_addc_co_u32_e32 v4, vcc, 0, v2, vcc
	v_lshlrev_b32_e32 v4, 2, v4
	s_waitcnt vmcnt(0)
	ds_bpermute_b32 v4, v4, v1
	s_min_u32 s8, s8, 0x80
	v_and_b32_e32 v5, 64, v0
	v_sub_u32_e64 v5, s8, v5 clamp
	v_add_u32_e32 v6, 1, v3
	s_waitcnt lgkmcnt(0)
	v_cmp_lt_f32_e32 vcc, v1, v4
	v_cmp_gt_u32_e64 s[0:1], 62, v3
	v_cndmask_b32_e32 v4, v1, v4, vcc
	v_cmp_lt_u32_e32 vcc, v6, v5
	v_cndmask_b32_e64 v6, 0, 1, s[0:1]
	v_lshlrev_b32_e32 v6, 1, v6
	v_cndmask_b32_e32 v4, v1, v4, vcc
	v_add_lshl_u32 v6, v6, v2, 2
	ds_bpermute_b32 v6, v6, v4
	v_add_u32_e32 v7, 2, v3
	s_waitcnt lgkmcnt(0)
	v_cmp_lt_f32_e64 s[0:1], v4, v6
	v_cndmask_b32_e64 v6, v4, v6, s[0:1]
	v_cmp_lt_u32_e64 s[0:1], v7, v5
	v_cndmask_b32_e64 v4, v4, v6, s[0:1]
	v_cmp_gt_u32_e64 s[0:1], 60, v3
	v_cndmask_b32_e64 v6, 0, 1, s[0:1]
	v_lshlrev_b32_e32 v6, 2, v6
	v_add_lshl_u32 v6, v6, v2, 2
	ds_bpermute_b32 v6, v6, v4
	v_add_u32_e32 v7, 4, v3
	s_waitcnt lgkmcnt(0)
	v_cmp_lt_f32_e64 s[0:1], v4, v6
	v_cndmask_b32_e64 v6, v4, v6, s[0:1]
	v_cmp_lt_u32_e64 s[0:1], v7, v5
	v_cndmask_b32_e64 v4, v4, v6, s[0:1]
	v_cmp_gt_u32_e64 s[0:1], 56, v3
	v_cndmask_b32_e64 v6, 0, 1, s[0:1]
	v_lshlrev_b32_e32 v6, 3, v6
	;; [unrolled: 11-line block ×4, first 2 shown]
	v_add_lshl_u32 v6, v6, v2, 2
	ds_bpermute_b32 v6, v6, v4
	v_add_u32_e32 v3, 32, v3
	v_cmp_lt_u32_e64 s[0:1], v3, v5
	s_waitcnt lgkmcnt(0)
	v_cmp_lt_f32_e64 s[2:3], v4, v6
	s_and_b64 s[0:1], s[0:1], s[2:3]
	v_cndmask_b32_e64 v3, v4, v6, s[0:1]
	v_cndmask_b32_e32 v1, v1, v3, vcc
	v_cmp_eq_u32_e32 vcc, 0, v2
	s_and_saveexec_b64 s[0:1], vcc
	s_cbranch_execz .LBB12_232
; %bb.231:
	v_lshrrev_b32_e32 v3, 4, v0
	v_and_b32_e32 v3, 4, v3
	ds_write_b32 v3, v1 offset:48
.LBB12_232:
	s_or_b64 exec, exec, s[0:1]
	v_cmp_gt_u32_e32 vcc, 2, v0
	s_waitcnt lgkmcnt(0)
	s_barrier
	s_and_saveexec_b64 s[2:3], vcc
	s_cbranch_execz .LBB12_234
; %bb.233:
	v_lshlrev_b32_e32 v1, 2, v2
	ds_read_b32 v3, v1 offset:48
	v_or_b32_e32 v1, 4, v1
	s_add_i32 s8, s8, 63
	v_and_b32_e32 v2, 1, v2
	s_lshr_b32 s0, s8, 6
	s_waitcnt lgkmcnt(0)
	ds_bpermute_b32 v1, v1, v3
	v_add_u32_e32 v2, 1, v2
	v_cmp_gt_u32_e32 vcc, s0, v2
	s_waitcnt lgkmcnt(0)
	v_cmp_lt_f32_e64 s[0:1], v3, v1
	s_and_b64 vcc, vcc, s[0:1]
	v_cndmask_b32_e32 v1, v3, v1, vcc
.LBB12_234:
	s_or_b64 exec, exec, s[2:3]
	v_cmp_eq_u32_e64 s[0:1], 0, v0
	s_and_saveexec_b64 s[2:3], s[0:1]
	s_cbranch_execnz .LBB12_225
	s_branch .LBB12_226
	.section	.rodata,"a",@progbits
	.p2align	6, 0x0
	.amdhsa_kernel _ZN7rocprim17ROCPRIM_400000_NS6detail17trampoline_kernelINS0_14default_configENS1_22reduce_config_selectorIfEEZNS1_11reduce_implILb1ES3_PfS7_fN6thrust23THRUST_200600_302600_NS7maximumIfEEEE10hipError_tPvRmT1_T2_T3_mT4_P12ihipStream_tbEUlT_E1_NS1_11comp_targetILNS1_3genE4ELNS1_11target_archE910ELNS1_3gpuE8ELNS1_3repE0EEENS1_30default_config_static_selectorELNS0_4arch9wavefront6targetE1EEEvSF_
		.amdhsa_group_segment_fixed_size 56
		.amdhsa_private_segment_fixed_size 0
		.amdhsa_kernarg_size 40
		.amdhsa_user_sgpr_count 6
		.amdhsa_user_sgpr_private_segment_buffer 1
		.amdhsa_user_sgpr_dispatch_ptr 0
		.amdhsa_user_sgpr_queue_ptr 0
		.amdhsa_user_sgpr_kernarg_segment_ptr 1
		.amdhsa_user_sgpr_dispatch_id 0
		.amdhsa_user_sgpr_flat_scratch_init 0
		.amdhsa_user_sgpr_kernarg_preload_length 0
		.amdhsa_user_sgpr_kernarg_preload_offset 0
		.amdhsa_user_sgpr_private_segment_size 0
		.amdhsa_uses_dynamic_stack 0
		.amdhsa_system_sgpr_private_segment_wavefront_offset 0
		.amdhsa_system_sgpr_workgroup_id_x 1
		.amdhsa_system_sgpr_workgroup_id_y 0
		.amdhsa_system_sgpr_workgroup_id_z 0
		.amdhsa_system_sgpr_workgroup_info 0
		.amdhsa_system_vgpr_workitem_id 0
		.amdhsa_next_free_vgpr 35
		.amdhsa_next_free_sgpr 77
		.amdhsa_accum_offset 36
		.amdhsa_reserve_vcc 1
		.amdhsa_reserve_flat_scratch 0
		.amdhsa_float_round_mode_32 0
		.amdhsa_float_round_mode_16_64 0
		.amdhsa_float_denorm_mode_32 3
		.amdhsa_float_denorm_mode_16_64 3
		.amdhsa_dx10_clamp 1
		.amdhsa_ieee_mode 1
		.amdhsa_fp16_overflow 0
		.amdhsa_tg_split 0
		.amdhsa_exception_fp_ieee_invalid_op 0
		.amdhsa_exception_fp_denorm_src 0
		.amdhsa_exception_fp_ieee_div_zero 0
		.amdhsa_exception_fp_ieee_overflow 0
		.amdhsa_exception_fp_ieee_underflow 0
		.amdhsa_exception_fp_ieee_inexact 0
		.amdhsa_exception_int_div_zero 0
	.end_amdhsa_kernel
	.section	.text._ZN7rocprim17ROCPRIM_400000_NS6detail17trampoline_kernelINS0_14default_configENS1_22reduce_config_selectorIfEEZNS1_11reduce_implILb1ES3_PfS7_fN6thrust23THRUST_200600_302600_NS7maximumIfEEEE10hipError_tPvRmT1_T2_T3_mT4_P12ihipStream_tbEUlT_E1_NS1_11comp_targetILNS1_3genE4ELNS1_11target_archE910ELNS1_3gpuE8ELNS1_3repE0EEENS1_30default_config_static_selectorELNS0_4arch9wavefront6targetE1EEEvSF_,"axG",@progbits,_ZN7rocprim17ROCPRIM_400000_NS6detail17trampoline_kernelINS0_14default_configENS1_22reduce_config_selectorIfEEZNS1_11reduce_implILb1ES3_PfS7_fN6thrust23THRUST_200600_302600_NS7maximumIfEEEE10hipError_tPvRmT1_T2_T3_mT4_P12ihipStream_tbEUlT_E1_NS1_11comp_targetILNS1_3genE4ELNS1_11target_archE910ELNS1_3gpuE8ELNS1_3repE0EEENS1_30default_config_static_selectorELNS0_4arch9wavefront6targetE1EEEvSF_,comdat
.Lfunc_end12:
	.size	_ZN7rocprim17ROCPRIM_400000_NS6detail17trampoline_kernelINS0_14default_configENS1_22reduce_config_selectorIfEEZNS1_11reduce_implILb1ES3_PfS7_fN6thrust23THRUST_200600_302600_NS7maximumIfEEEE10hipError_tPvRmT1_T2_T3_mT4_P12ihipStream_tbEUlT_E1_NS1_11comp_targetILNS1_3genE4ELNS1_11target_archE910ELNS1_3gpuE8ELNS1_3repE0EEENS1_30default_config_static_selectorELNS0_4arch9wavefront6targetE1EEEvSF_, .Lfunc_end12-_ZN7rocprim17ROCPRIM_400000_NS6detail17trampoline_kernelINS0_14default_configENS1_22reduce_config_selectorIfEEZNS1_11reduce_implILb1ES3_PfS7_fN6thrust23THRUST_200600_302600_NS7maximumIfEEEE10hipError_tPvRmT1_T2_T3_mT4_P12ihipStream_tbEUlT_E1_NS1_11comp_targetILNS1_3genE4ELNS1_11target_archE910ELNS1_3gpuE8ELNS1_3repE0EEENS1_30default_config_static_selectorELNS0_4arch9wavefront6targetE1EEEvSF_
                                        ; -- End function
	.section	.AMDGPU.csdata,"",@progbits
; Kernel info:
; codeLenInByte = 10236
; NumSgprs: 81
; NumVgprs: 35
; NumAgprs: 0
; TotalNumVgprs: 35
; ScratchSize: 0
; MemoryBound: 0
; FloatMode: 240
; IeeeMode: 1
; LDSByteSize: 56 bytes/workgroup (compile time only)
; SGPRBlocks: 10
; VGPRBlocks: 4
; NumSGPRsForWavesPerEU: 81
; NumVGPRsForWavesPerEU: 35
; AccumOffset: 36
; Occupancy: 8
; WaveLimiterHint : 1
; COMPUTE_PGM_RSRC2:SCRATCH_EN: 0
; COMPUTE_PGM_RSRC2:USER_SGPR: 6
; COMPUTE_PGM_RSRC2:TRAP_HANDLER: 0
; COMPUTE_PGM_RSRC2:TGID_X_EN: 1
; COMPUTE_PGM_RSRC2:TGID_Y_EN: 0
; COMPUTE_PGM_RSRC2:TGID_Z_EN: 0
; COMPUTE_PGM_RSRC2:TIDIG_COMP_CNT: 0
; COMPUTE_PGM_RSRC3_GFX90A:ACCUM_OFFSET: 8
; COMPUTE_PGM_RSRC3_GFX90A:TG_SPLIT: 0
	.section	.text._ZN7rocprim17ROCPRIM_400000_NS6detail17trampoline_kernelINS0_14default_configENS1_22reduce_config_selectorIfEEZNS1_11reduce_implILb1ES3_PfS7_fN6thrust23THRUST_200600_302600_NS7maximumIfEEEE10hipError_tPvRmT1_T2_T3_mT4_P12ihipStream_tbEUlT_E1_NS1_11comp_targetILNS1_3genE3ELNS1_11target_archE908ELNS1_3gpuE7ELNS1_3repE0EEENS1_30default_config_static_selectorELNS0_4arch9wavefront6targetE1EEEvSF_,"axG",@progbits,_ZN7rocprim17ROCPRIM_400000_NS6detail17trampoline_kernelINS0_14default_configENS1_22reduce_config_selectorIfEEZNS1_11reduce_implILb1ES3_PfS7_fN6thrust23THRUST_200600_302600_NS7maximumIfEEEE10hipError_tPvRmT1_T2_T3_mT4_P12ihipStream_tbEUlT_E1_NS1_11comp_targetILNS1_3genE3ELNS1_11target_archE908ELNS1_3gpuE7ELNS1_3repE0EEENS1_30default_config_static_selectorELNS0_4arch9wavefront6targetE1EEEvSF_,comdat
	.protected	_ZN7rocprim17ROCPRIM_400000_NS6detail17trampoline_kernelINS0_14default_configENS1_22reduce_config_selectorIfEEZNS1_11reduce_implILb1ES3_PfS7_fN6thrust23THRUST_200600_302600_NS7maximumIfEEEE10hipError_tPvRmT1_T2_T3_mT4_P12ihipStream_tbEUlT_E1_NS1_11comp_targetILNS1_3genE3ELNS1_11target_archE908ELNS1_3gpuE7ELNS1_3repE0EEENS1_30default_config_static_selectorELNS0_4arch9wavefront6targetE1EEEvSF_ ; -- Begin function _ZN7rocprim17ROCPRIM_400000_NS6detail17trampoline_kernelINS0_14default_configENS1_22reduce_config_selectorIfEEZNS1_11reduce_implILb1ES3_PfS7_fN6thrust23THRUST_200600_302600_NS7maximumIfEEEE10hipError_tPvRmT1_T2_T3_mT4_P12ihipStream_tbEUlT_E1_NS1_11comp_targetILNS1_3genE3ELNS1_11target_archE908ELNS1_3gpuE7ELNS1_3repE0EEENS1_30default_config_static_selectorELNS0_4arch9wavefront6targetE1EEEvSF_
	.globl	_ZN7rocprim17ROCPRIM_400000_NS6detail17trampoline_kernelINS0_14default_configENS1_22reduce_config_selectorIfEEZNS1_11reduce_implILb1ES3_PfS7_fN6thrust23THRUST_200600_302600_NS7maximumIfEEEE10hipError_tPvRmT1_T2_T3_mT4_P12ihipStream_tbEUlT_E1_NS1_11comp_targetILNS1_3genE3ELNS1_11target_archE908ELNS1_3gpuE7ELNS1_3repE0EEENS1_30default_config_static_selectorELNS0_4arch9wavefront6targetE1EEEvSF_
	.p2align	8
	.type	_ZN7rocprim17ROCPRIM_400000_NS6detail17trampoline_kernelINS0_14default_configENS1_22reduce_config_selectorIfEEZNS1_11reduce_implILb1ES3_PfS7_fN6thrust23THRUST_200600_302600_NS7maximumIfEEEE10hipError_tPvRmT1_T2_T3_mT4_P12ihipStream_tbEUlT_E1_NS1_11comp_targetILNS1_3genE3ELNS1_11target_archE908ELNS1_3gpuE7ELNS1_3repE0EEENS1_30default_config_static_selectorELNS0_4arch9wavefront6targetE1EEEvSF_,@function
_ZN7rocprim17ROCPRIM_400000_NS6detail17trampoline_kernelINS0_14default_configENS1_22reduce_config_selectorIfEEZNS1_11reduce_implILb1ES3_PfS7_fN6thrust23THRUST_200600_302600_NS7maximumIfEEEE10hipError_tPvRmT1_T2_T3_mT4_P12ihipStream_tbEUlT_E1_NS1_11comp_targetILNS1_3genE3ELNS1_11target_archE908ELNS1_3gpuE7ELNS1_3repE0EEENS1_30default_config_static_selectorELNS0_4arch9wavefront6targetE1EEEvSF_: ; @_ZN7rocprim17ROCPRIM_400000_NS6detail17trampoline_kernelINS0_14default_configENS1_22reduce_config_selectorIfEEZNS1_11reduce_implILb1ES3_PfS7_fN6thrust23THRUST_200600_302600_NS7maximumIfEEEE10hipError_tPvRmT1_T2_T3_mT4_P12ihipStream_tbEUlT_E1_NS1_11comp_targetILNS1_3genE3ELNS1_11target_archE908ELNS1_3gpuE7ELNS1_3repE0EEENS1_30default_config_static_selectorELNS0_4arch9wavefront6targetE1EEEvSF_
; %bb.0:
	.section	.rodata,"a",@progbits
	.p2align	6, 0x0
	.amdhsa_kernel _ZN7rocprim17ROCPRIM_400000_NS6detail17trampoline_kernelINS0_14default_configENS1_22reduce_config_selectorIfEEZNS1_11reduce_implILb1ES3_PfS7_fN6thrust23THRUST_200600_302600_NS7maximumIfEEEE10hipError_tPvRmT1_T2_T3_mT4_P12ihipStream_tbEUlT_E1_NS1_11comp_targetILNS1_3genE3ELNS1_11target_archE908ELNS1_3gpuE7ELNS1_3repE0EEENS1_30default_config_static_selectorELNS0_4arch9wavefront6targetE1EEEvSF_
		.amdhsa_group_segment_fixed_size 0
		.amdhsa_private_segment_fixed_size 0
		.amdhsa_kernarg_size 40
		.amdhsa_user_sgpr_count 6
		.amdhsa_user_sgpr_private_segment_buffer 1
		.amdhsa_user_sgpr_dispatch_ptr 0
		.amdhsa_user_sgpr_queue_ptr 0
		.amdhsa_user_sgpr_kernarg_segment_ptr 1
		.amdhsa_user_sgpr_dispatch_id 0
		.amdhsa_user_sgpr_flat_scratch_init 0
		.amdhsa_user_sgpr_kernarg_preload_length 0
		.amdhsa_user_sgpr_kernarg_preload_offset 0
		.amdhsa_user_sgpr_private_segment_size 0
		.amdhsa_uses_dynamic_stack 0
		.amdhsa_system_sgpr_private_segment_wavefront_offset 0
		.amdhsa_system_sgpr_workgroup_id_x 1
		.amdhsa_system_sgpr_workgroup_id_y 0
		.amdhsa_system_sgpr_workgroup_id_z 0
		.amdhsa_system_sgpr_workgroup_info 0
		.amdhsa_system_vgpr_workitem_id 0
		.amdhsa_next_free_vgpr 1
		.amdhsa_next_free_sgpr 0
		.amdhsa_accum_offset 4
		.amdhsa_reserve_vcc 0
		.amdhsa_reserve_flat_scratch 0
		.amdhsa_float_round_mode_32 0
		.amdhsa_float_round_mode_16_64 0
		.amdhsa_float_denorm_mode_32 3
		.amdhsa_float_denorm_mode_16_64 3
		.amdhsa_dx10_clamp 1
		.amdhsa_ieee_mode 1
		.amdhsa_fp16_overflow 0
		.amdhsa_tg_split 0
		.amdhsa_exception_fp_ieee_invalid_op 0
		.amdhsa_exception_fp_denorm_src 0
		.amdhsa_exception_fp_ieee_div_zero 0
		.amdhsa_exception_fp_ieee_overflow 0
		.amdhsa_exception_fp_ieee_underflow 0
		.amdhsa_exception_fp_ieee_inexact 0
		.amdhsa_exception_int_div_zero 0
	.end_amdhsa_kernel
	.section	.text._ZN7rocprim17ROCPRIM_400000_NS6detail17trampoline_kernelINS0_14default_configENS1_22reduce_config_selectorIfEEZNS1_11reduce_implILb1ES3_PfS7_fN6thrust23THRUST_200600_302600_NS7maximumIfEEEE10hipError_tPvRmT1_T2_T3_mT4_P12ihipStream_tbEUlT_E1_NS1_11comp_targetILNS1_3genE3ELNS1_11target_archE908ELNS1_3gpuE7ELNS1_3repE0EEENS1_30default_config_static_selectorELNS0_4arch9wavefront6targetE1EEEvSF_,"axG",@progbits,_ZN7rocprim17ROCPRIM_400000_NS6detail17trampoline_kernelINS0_14default_configENS1_22reduce_config_selectorIfEEZNS1_11reduce_implILb1ES3_PfS7_fN6thrust23THRUST_200600_302600_NS7maximumIfEEEE10hipError_tPvRmT1_T2_T3_mT4_P12ihipStream_tbEUlT_E1_NS1_11comp_targetILNS1_3genE3ELNS1_11target_archE908ELNS1_3gpuE7ELNS1_3repE0EEENS1_30default_config_static_selectorELNS0_4arch9wavefront6targetE1EEEvSF_,comdat
.Lfunc_end13:
	.size	_ZN7rocprim17ROCPRIM_400000_NS6detail17trampoline_kernelINS0_14default_configENS1_22reduce_config_selectorIfEEZNS1_11reduce_implILb1ES3_PfS7_fN6thrust23THRUST_200600_302600_NS7maximumIfEEEE10hipError_tPvRmT1_T2_T3_mT4_P12ihipStream_tbEUlT_E1_NS1_11comp_targetILNS1_3genE3ELNS1_11target_archE908ELNS1_3gpuE7ELNS1_3repE0EEENS1_30default_config_static_selectorELNS0_4arch9wavefront6targetE1EEEvSF_, .Lfunc_end13-_ZN7rocprim17ROCPRIM_400000_NS6detail17trampoline_kernelINS0_14default_configENS1_22reduce_config_selectorIfEEZNS1_11reduce_implILb1ES3_PfS7_fN6thrust23THRUST_200600_302600_NS7maximumIfEEEE10hipError_tPvRmT1_T2_T3_mT4_P12ihipStream_tbEUlT_E1_NS1_11comp_targetILNS1_3genE3ELNS1_11target_archE908ELNS1_3gpuE7ELNS1_3repE0EEENS1_30default_config_static_selectorELNS0_4arch9wavefront6targetE1EEEvSF_
                                        ; -- End function
	.section	.AMDGPU.csdata,"",@progbits
; Kernel info:
; codeLenInByte = 0
; NumSgprs: 4
; NumVgprs: 0
; NumAgprs: 0
; TotalNumVgprs: 0
; ScratchSize: 0
; MemoryBound: 0
; FloatMode: 240
; IeeeMode: 1
; LDSByteSize: 0 bytes/workgroup (compile time only)
; SGPRBlocks: 0
; VGPRBlocks: 0
; NumSGPRsForWavesPerEU: 4
; NumVGPRsForWavesPerEU: 1
; AccumOffset: 4
; Occupancy: 8
; WaveLimiterHint : 0
; COMPUTE_PGM_RSRC2:SCRATCH_EN: 0
; COMPUTE_PGM_RSRC2:USER_SGPR: 6
; COMPUTE_PGM_RSRC2:TRAP_HANDLER: 0
; COMPUTE_PGM_RSRC2:TGID_X_EN: 1
; COMPUTE_PGM_RSRC2:TGID_Y_EN: 0
; COMPUTE_PGM_RSRC2:TGID_Z_EN: 0
; COMPUTE_PGM_RSRC2:TIDIG_COMP_CNT: 0
; COMPUTE_PGM_RSRC3_GFX90A:ACCUM_OFFSET: 0
; COMPUTE_PGM_RSRC3_GFX90A:TG_SPLIT: 0
	.section	.text._ZN7rocprim17ROCPRIM_400000_NS6detail17trampoline_kernelINS0_14default_configENS1_22reduce_config_selectorIfEEZNS1_11reduce_implILb1ES3_PfS7_fN6thrust23THRUST_200600_302600_NS7maximumIfEEEE10hipError_tPvRmT1_T2_T3_mT4_P12ihipStream_tbEUlT_E1_NS1_11comp_targetILNS1_3genE2ELNS1_11target_archE906ELNS1_3gpuE6ELNS1_3repE0EEENS1_30default_config_static_selectorELNS0_4arch9wavefront6targetE1EEEvSF_,"axG",@progbits,_ZN7rocprim17ROCPRIM_400000_NS6detail17trampoline_kernelINS0_14default_configENS1_22reduce_config_selectorIfEEZNS1_11reduce_implILb1ES3_PfS7_fN6thrust23THRUST_200600_302600_NS7maximumIfEEEE10hipError_tPvRmT1_T2_T3_mT4_P12ihipStream_tbEUlT_E1_NS1_11comp_targetILNS1_3genE2ELNS1_11target_archE906ELNS1_3gpuE6ELNS1_3repE0EEENS1_30default_config_static_selectorELNS0_4arch9wavefront6targetE1EEEvSF_,comdat
	.protected	_ZN7rocprim17ROCPRIM_400000_NS6detail17trampoline_kernelINS0_14default_configENS1_22reduce_config_selectorIfEEZNS1_11reduce_implILb1ES3_PfS7_fN6thrust23THRUST_200600_302600_NS7maximumIfEEEE10hipError_tPvRmT1_T2_T3_mT4_P12ihipStream_tbEUlT_E1_NS1_11comp_targetILNS1_3genE2ELNS1_11target_archE906ELNS1_3gpuE6ELNS1_3repE0EEENS1_30default_config_static_selectorELNS0_4arch9wavefront6targetE1EEEvSF_ ; -- Begin function _ZN7rocprim17ROCPRIM_400000_NS6detail17trampoline_kernelINS0_14default_configENS1_22reduce_config_selectorIfEEZNS1_11reduce_implILb1ES3_PfS7_fN6thrust23THRUST_200600_302600_NS7maximumIfEEEE10hipError_tPvRmT1_T2_T3_mT4_P12ihipStream_tbEUlT_E1_NS1_11comp_targetILNS1_3genE2ELNS1_11target_archE906ELNS1_3gpuE6ELNS1_3repE0EEENS1_30default_config_static_selectorELNS0_4arch9wavefront6targetE1EEEvSF_
	.globl	_ZN7rocprim17ROCPRIM_400000_NS6detail17trampoline_kernelINS0_14default_configENS1_22reduce_config_selectorIfEEZNS1_11reduce_implILb1ES3_PfS7_fN6thrust23THRUST_200600_302600_NS7maximumIfEEEE10hipError_tPvRmT1_T2_T3_mT4_P12ihipStream_tbEUlT_E1_NS1_11comp_targetILNS1_3genE2ELNS1_11target_archE906ELNS1_3gpuE6ELNS1_3repE0EEENS1_30default_config_static_selectorELNS0_4arch9wavefront6targetE1EEEvSF_
	.p2align	8
	.type	_ZN7rocprim17ROCPRIM_400000_NS6detail17trampoline_kernelINS0_14default_configENS1_22reduce_config_selectorIfEEZNS1_11reduce_implILb1ES3_PfS7_fN6thrust23THRUST_200600_302600_NS7maximumIfEEEE10hipError_tPvRmT1_T2_T3_mT4_P12ihipStream_tbEUlT_E1_NS1_11comp_targetILNS1_3genE2ELNS1_11target_archE906ELNS1_3gpuE6ELNS1_3repE0EEENS1_30default_config_static_selectorELNS0_4arch9wavefront6targetE1EEEvSF_,@function
_ZN7rocprim17ROCPRIM_400000_NS6detail17trampoline_kernelINS0_14default_configENS1_22reduce_config_selectorIfEEZNS1_11reduce_implILb1ES3_PfS7_fN6thrust23THRUST_200600_302600_NS7maximumIfEEEE10hipError_tPvRmT1_T2_T3_mT4_P12ihipStream_tbEUlT_E1_NS1_11comp_targetILNS1_3genE2ELNS1_11target_archE906ELNS1_3gpuE6ELNS1_3repE0EEENS1_30default_config_static_selectorELNS0_4arch9wavefront6targetE1EEEvSF_: ; @_ZN7rocprim17ROCPRIM_400000_NS6detail17trampoline_kernelINS0_14default_configENS1_22reduce_config_selectorIfEEZNS1_11reduce_implILb1ES3_PfS7_fN6thrust23THRUST_200600_302600_NS7maximumIfEEEE10hipError_tPvRmT1_T2_T3_mT4_P12ihipStream_tbEUlT_E1_NS1_11comp_targetILNS1_3genE2ELNS1_11target_archE906ELNS1_3gpuE6ELNS1_3repE0EEENS1_30default_config_static_selectorELNS0_4arch9wavefront6targetE1EEEvSF_
; %bb.0:
	.section	.rodata,"a",@progbits
	.p2align	6, 0x0
	.amdhsa_kernel _ZN7rocprim17ROCPRIM_400000_NS6detail17trampoline_kernelINS0_14default_configENS1_22reduce_config_selectorIfEEZNS1_11reduce_implILb1ES3_PfS7_fN6thrust23THRUST_200600_302600_NS7maximumIfEEEE10hipError_tPvRmT1_T2_T3_mT4_P12ihipStream_tbEUlT_E1_NS1_11comp_targetILNS1_3genE2ELNS1_11target_archE906ELNS1_3gpuE6ELNS1_3repE0EEENS1_30default_config_static_selectorELNS0_4arch9wavefront6targetE1EEEvSF_
		.amdhsa_group_segment_fixed_size 0
		.amdhsa_private_segment_fixed_size 0
		.amdhsa_kernarg_size 40
		.amdhsa_user_sgpr_count 6
		.amdhsa_user_sgpr_private_segment_buffer 1
		.amdhsa_user_sgpr_dispatch_ptr 0
		.amdhsa_user_sgpr_queue_ptr 0
		.amdhsa_user_sgpr_kernarg_segment_ptr 1
		.amdhsa_user_sgpr_dispatch_id 0
		.amdhsa_user_sgpr_flat_scratch_init 0
		.amdhsa_user_sgpr_kernarg_preload_length 0
		.amdhsa_user_sgpr_kernarg_preload_offset 0
		.amdhsa_user_sgpr_private_segment_size 0
		.amdhsa_uses_dynamic_stack 0
		.amdhsa_system_sgpr_private_segment_wavefront_offset 0
		.amdhsa_system_sgpr_workgroup_id_x 1
		.amdhsa_system_sgpr_workgroup_id_y 0
		.amdhsa_system_sgpr_workgroup_id_z 0
		.amdhsa_system_sgpr_workgroup_info 0
		.amdhsa_system_vgpr_workitem_id 0
		.amdhsa_next_free_vgpr 1
		.amdhsa_next_free_sgpr 0
		.amdhsa_accum_offset 4
		.amdhsa_reserve_vcc 0
		.amdhsa_reserve_flat_scratch 0
		.amdhsa_float_round_mode_32 0
		.amdhsa_float_round_mode_16_64 0
		.amdhsa_float_denorm_mode_32 3
		.amdhsa_float_denorm_mode_16_64 3
		.amdhsa_dx10_clamp 1
		.amdhsa_ieee_mode 1
		.amdhsa_fp16_overflow 0
		.amdhsa_tg_split 0
		.amdhsa_exception_fp_ieee_invalid_op 0
		.amdhsa_exception_fp_denorm_src 0
		.amdhsa_exception_fp_ieee_div_zero 0
		.amdhsa_exception_fp_ieee_overflow 0
		.amdhsa_exception_fp_ieee_underflow 0
		.amdhsa_exception_fp_ieee_inexact 0
		.amdhsa_exception_int_div_zero 0
	.end_amdhsa_kernel
	.section	.text._ZN7rocprim17ROCPRIM_400000_NS6detail17trampoline_kernelINS0_14default_configENS1_22reduce_config_selectorIfEEZNS1_11reduce_implILb1ES3_PfS7_fN6thrust23THRUST_200600_302600_NS7maximumIfEEEE10hipError_tPvRmT1_T2_T3_mT4_P12ihipStream_tbEUlT_E1_NS1_11comp_targetILNS1_3genE2ELNS1_11target_archE906ELNS1_3gpuE6ELNS1_3repE0EEENS1_30default_config_static_selectorELNS0_4arch9wavefront6targetE1EEEvSF_,"axG",@progbits,_ZN7rocprim17ROCPRIM_400000_NS6detail17trampoline_kernelINS0_14default_configENS1_22reduce_config_selectorIfEEZNS1_11reduce_implILb1ES3_PfS7_fN6thrust23THRUST_200600_302600_NS7maximumIfEEEE10hipError_tPvRmT1_T2_T3_mT4_P12ihipStream_tbEUlT_E1_NS1_11comp_targetILNS1_3genE2ELNS1_11target_archE906ELNS1_3gpuE6ELNS1_3repE0EEENS1_30default_config_static_selectorELNS0_4arch9wavefront6targetE1EEEvSF_,comdat
.Lfunc_end14:
	.size	_ZN7rocprim17ROCPRIM_400000_NS6detail17trampoline_kernelINS0_14default_configENS1_22reduce_config_selectorIfEEZNS1_11reduce_implILb1ES3_PfS7_fN6thrust23THRUST_200600_302600_NS7maximumIfEEEE10hipError_tPvRmT1_T2_T3_mT4_P12ihipStream_tbEUlT_E1_NS1_11comp_targetILNS1_3genE2ELNS1_11target_archE906ELNS1_3gpuE6ELNS1_3repE0EEENS1_30default_config_static_selectorELNS0_4arch9wavefront6targetE1EEEvSF_, .Lfunc_end14-_ZN7rocprim17ROCPRIM_400000_NS6detail17trampoline_kernelINS0_14default_configENS1_22reduce_config_selectorIfEEZNS1_11reduce_implILb1ES3_PfS7_fN6thrust23THRUST_200600_302600_NS7maximumIfEEEE10hipError_tPvRmT1_T2_T3_mT4_P12ihipStream_tbEUlT_E1_NS1_11comp_targetILNS1_3genE2ELNS1_11target_archE906ELNS1_3gpuE6ELNS1_3repE0EEENS1_30default_config_static_selectorELNS0_4arch9wavefront6targetE1EEEvSF_
                                        ; -- End function
	.section	.AMDGPU.csdata,"",@progbits
; Kernel info:
; codeLenInByte = 0
; NumSgprs: 4
; NumVgprs: 0
; NumAgprs: 0
; TotalNumVgprs: 0
; ScratchSize: 0
; MemoryBound: 0
; FloatMode: 240
; IeeeMode: 1
; LDSByteSize: 0 bytes/workgroup (compile time only)
; SGPRBlocks: 0
; VGPRBlocks: 0
; NumSGPRsForWavesPerEU: 4
; NumVGPRsForWavesPerEU: 1
; AccumOffset: 4
; Occupancy: 8
; WaveLimiterHint : 0
; COMPUTE_PGM_RSRC2:SCRATCH_EN: 0
; COMPUTE_PGM_RSRC2:USER_SGPR: 6
; COMPUTE_PGM_RSRC2:TRAP_HANDLER: 0
; COMPUTE_PGM_RSRC2:TGID_X_EN: 1
; COMPUTE_PGM_RSRC2:TGID_Y_EN: 0
; COMPUTE_PGM_RSRC2:TGID_Z_EN: 0
; COMPUTE_PGM_RSRC2:TIDIG_COMP_CNT: 0
; COMPUTE_PGM_RSRC3_GFX90A:ACCUM_OFFSET: 0
; COMPUTE_PGM_RSRC3_GFX90A:TG_SPLIT: 0
	.section	.text._ZN7rocprim17ROCPRIM_400000_NS6detail17trampoline_kernelINS0_14default_configENS1_22reduce_config_selectorIfEEZNS1_11reduce_implILb1ES3_PfS7_fN6thrust23THRUST_200600_302600_NS7maximumIfEEEE10hipError_tPvRmT1_T2_T3_mT4_P12ihipStream_tbEUlT_E1_NS1_11comp_targetILNS1_3genE10ELNS1_11target_archE1201ELNS1_3gpuE5ELNS1_3repE0EEENS1_30default_config_static_selectorELNS0_4arch9wavefront6targetE1EEEvSF_,"axG",@progbits,_ZN7rocprim17ROCPRIM_400000_NS6detail17trampoline_kernelINS0_14default_configENS1_22reduce_config_selectorIfEEZNS1_11reduce_implILb1ES3_PfS7_fN6thrust23THRUST_200600_302600_NS7maximumIfEEEE10hipError_tPvRmT1_T2_T3_mT4_P12ihipStream_tbEUlT_E1_NS1_11comp_targetILNS1_3genE10ELNS1_11target_archE1201ELNS1_3gpuE5ELNS1_3repE0EEENS1_30default_config_static_selectorELNS0_4arch9wavefront6targetE1EEEvSF_,comdat
	.protected	_ZN7rocprim17ROCPRIM_400000_NS6detail17trampoline_kernelINS0_14default_configENS1_22reduce_config_selectorIfEEZNS1_11reduce_implILb1ES3_PfS7_fN6thrust23THRUST_200600_302600_NS7maximumIfEEEE10hipError_tPvRmT1_T2_T3_mT4_P12ihipStream_tbEUlT_E1_NS1_11comp_targetILNS1_3genE10ELNS1_11target_archE1201ELNS1_3gpuE5ELNS1_3repE0EEENS1_30default_config_static_selectorELNS0_4arch9wavefront6targetE1EEEvSF_ ; -- Begin function _ZN7rocprim17ROCPRIM_400000_NS6detail17trampoline_kernelINS0_14default_configENS1_22reduce_config_selectorIfEEZNS1_11reduce_implILb1ES3_PfS7_fN6thrust23THRUST_200600_302600_NS7maximumIfEEEE10hipError_tPvRmT1_T2_T3_mT4_P12ihipStream_tbEUlT_E1_NS1_11comp_targetILNS1_3genE10ELNS1_11target_archE1201ELNS1_3gpuE5ELNS1_3repE0EEENS1_30default_config_static_selectorELNS0_4arch9wavefront6targetE1EEEvSF_
	.globl	_ZN7rocprim17ROCPRIM_400000_NS6detail17trampoline_kernelINS0_14default_configENS1_22reduce_config_selectorIfEEZNS1_11reduce_implILb1ES3_PfS7_fN6thrust23THRUST_200600_302600_NS7maximumIfEEEE10hipError_tPvRmT1_T2_T3_mT4_P12ihipStream_tbEUlT_E1_NS1_11comp_targetILNS1_3genE10ELNS1_11target_archE1201ELNS1_3gpuE5ELNS1_3repE0EEENS1_30default_config_static_selectorELNS0_4arch9wavefront6targetE1EEEvSF_
	.p2align	8
	.type	_ZN7rocprim17ROCPRIM_400000_NS6detail17trampoline_kernelINS0_14default_configENS1_22reduce_config_selectorIfEEZNS1_11reduce_implILb1ES3_PfS7_fN6thrust23THRUST_200600_302600_NS7maximumIfEEEE10hipError_tPvRmT1_T2_T3_mT4_P12ihipStream_tbEUlT_E1_NS1_11comp_targetILNS1_3genE10ELNS1_11target_archE1201ELNS1_3gpuE5ELNS1_3repE0EEENS1_30default_config_static_selectorELNS0_4arch9wavefront6targetE1EEEvSF_,@function
_ZN7rocprim17ROCPRIM_400000_NS6detail17trampoline_kernelINS0_14default_configENS1_22reduce_config_selectorIfEEZNS1_11reduce_implILb1ES3_PfS7_fN6thrust23THRUST_200600_302600_NS7maximumIfEEEE10hipError_tPvRmT1_T2_T3_mT4_P12ihipStream_tbEUlT_E1_NS1_11comp_targetILNS1_3genE10ELNS1_11target_archE1201ELNS1_3gpuE5ELNS1_3repE0EEENS1_30default_config_static_selectorELNS0_4arch9wavefront6targetE1EEEvSF_: ; @_ZN7rocprim17ROCPRIM_400000_NS6detail17trampoline_kernelINS0_14default_configENS1_22reduce_config_selectorIfEEZNS1_11reduce_implILb1ES3_PfS7_fN6thrust23THRUST_200600_302600_NS7maximumIfEEEE10hipError_tPvRmT1_T2_T3_mT4_P12ihipStream_tbEUlT_E1_NS1_11comp_targetILNS1_3genE10ELNS1_11target_archE1201ELNS1_3gpuE5ELNS1_3repE0EEENS1_30default_config_static_selectorELNS0_4arch9wavefront6targetE1EEEvSF_
; %bb.0:
	.section	.rodata,"a",@progbits
	.p2align	6, 0x0
	.amdhsa_kernel _ZN7rocprim17ROCPRIM_400000_NS6detail17trampoline_kernelINS0_14default_configENS1_22reduce_config_selectorIfEEZNS1_11reduce_implILb1ES3_PfS7_fN6thrust23THRUST_200600_302600_NS7maximumIfEEEE10hipError_tPvRmT1_T2_T3_mT4_P12ihipStream_tbEUlT_E1_NS1_11comp_targetILNS1_3genE10ELNS1_11target_archE1201ELNS1_3gpuE5ELNS1_3repE0EEENS1_30default_config_static_selectorELNS0_4arch9wavefront6targetE1EEEvSF_
		.amdhsa_group_segment_fixed_size 0
		.amdhsa_private_segment_fixed_size 0
		.amdhsa_kernarg_size 40
		.amdhsa_user_sgpr_count 6
		.amdhsa_user_sgpr_private_segment_buffer 1
		.amdhsa_user_sgpr_dispatch_ptr 0
		.amdhsa_user_sgpr_queue_ptr 0
		.amdhsa_user_sgpr_kernarg_segment_ptr 1
		.amdhsa_user_sgpr_dispatch_id 0
		.amdhsa_user_sgpr_flat_scratch_init 0
		.amdhsa_user_sgpr_kernarg_preload_length 0
		.amdhsa_user_sgpr_kernarg_preload_offset 0
		.amdhsa_user_sgpr_private_segment_size 0
		.amdhsa_uses_dynamic_stack 0
		.amdhsa_system_sgpr_private_segment_wavefront_offset 0
		.amdhsa_system_sgpr_workgroup_id_x 1
		.amdhsa_system_sgpr_workgroup_id_y 0
		.amdhsa_system_sgpr_workgroup_id_z 0
		.amdhsa_system_sgpr_workgroup_info 0
		.amdhsa_system_vgpr_workitem_id 0
		.amdhsa_next_free_vgpr 1
		.amdhsa_next_free_sgpr 0
		.amdhsa_accum_offset 4
		.amdhsa_reserve_vcc 0
		.amdhsa_reserve_flat_scratch 0
		.amdhsa_float_round_mode_32 0
		.amdhsa_float_round_mode_16_64 0
		.amdhsa_float_denorm_mode_32 3
		.amdhsa_float_denorm_mode_16_64 3
		.amdhsa_dx10_clamp 1
		.amdhsa_ieee_mode 1
		.amdhsa_fp16_overflow 0
		.amdhsa_tg_split 0
		.amdhsa_exception_fp_ieee_invalid_op 0
		.amdhsa_exception_fp_denorm_src 0
		.amdhsa_exception_fp_ieee_div_zero 0
		.amdhsa_exception_fp_ieee_overflow 0
		.amdhsa_exception_fp_ieee_underflow 0
		.amdhsa_exception_fp_ieee_inexact 0
		.amdhsa_exception_int_div_zero 0
	.end_amdhsa_kernel
	.section	.text._ZN7rocprim17ROCPRIM_400000_NS6detail17trampoline_kernelINS0_14default_configENS1_22reduce_config_selectorIfEEZNS1_11reduce_implILb1ES3_PfS7_fN6thrust23THRUST_200600_302600_NS7maximumIfEEEE10hipError_tPvRmT1_T2_T3_mT4_P12ihipStream_tbEUlT_E1_NS1_11comp_targetILNS1_3genE10ELNS1_11target_archE1201ELNS1_3gpuE5ELNS1_3repE0EEENS1_30default_config_static_selectorELNS0_4arch9wavefront6targetE1EEEvSF_,"axG",@progbits,_ZN7rocprim17ROCPRIM_400000_NS6detail17trampoline_kernelINS0_14default_configENS1_22reduce_config_selectorIfEEZNS1_11reduce_implILb1ES3_PfS7_fN6thrust23THRUST_200600_302600_NS7maximumIfEEEE10hipError_tPvRmT1_T2_T3_mT4_P12ihipStream_tbEUlT_E1_NS1_11comp_targetILNS1_3genE10ELNS1_11target_archE1201ELNS1_3gpuE5ELNS1_3repE0EEENS1_30default_config_static_selectorELNS0_4arch9wavefront6targetE1EEEvSF_,comdat
.Lfunc_end15:
	.size	_ZN7rocprim17ROCPRIM_400000_NS6detail17trampoline_kernelINS0_14default_configENS1_22reduce_config_selectorIfEEZNS1_11reduce_implILb1ES3_PfS7_fN6thrust23THRUST_200600_302600_NS7maximumIfEEEE10hipError_tPvRmT1_T2_T3_mT4_P12ihipStream_tbEUlT_E1_NS1_11comp_targetILNS1_3genE10ELNS1_11target_archE1201ELNS1_3gpuE5ELNS1_3repE0EEENS1_30default_config_static_selectorELNS0_4arch9wavefront6targetE1EEEvSF_, .Lfunc_end15-_ZN7rocprim17ROCPRIM_400000_NS6detail17trampoline_kernelINS0_14default_configENS1_22reduce_config_selectorIfEEZNS1_11reduce_implILb1ES3_PfS7_fN6thrust23THRUST_200600_302600_NS7maximumIfEEEE10hipError_tPvRmT1_T2_T3_mT4_P12ihipStream_tbEUlT_E1_NS1_11comp_targetILNS1_3genE10ELNS1_11target_archE1201ELNS1_3gpuE5ELNS1_3repE0EEENS1_30default_config_static_selectorELNS0_4arch9wavefront6targetE1EEEvSF_
                                        ; -- End function
	.section	.AMDGPU.csdata,"",@progbits
; Kernel info:
; codeLenInByte = 0
; NumSgprs: 4
; NumVgprs: 0
; NumAgprs: 0
; TotalNumVgprs: 0
; ScratchSize: 0
; MemoryBound: 0
; FloatMode: 240
; IeeeMode: 1
; LDSByteSize: 0 bytes/workgroup (compile time only)
; SGPRBlocks: 0
; VGPRBlocks: 0
; NumSGPRsForWavesPerEU: 4
; NumVGPRsForWavesPerEU: 1
; AccumOffset: 4
; Occupancy: 8
; WaveLimiterHint : 0
; COMPUTE_PGM_RSRC2:SCRATCH_EN: 0
; COMPUTE_PGM_RSRC2:USER_SGPR: 6
; COMPUTE_PGM_RSRC2:TRAP_HANDLER: 0
; COMPUTE_PGM_RSRC2:TGID_X_EN: 1
; COMPUTE_PGM_RSRC2:TGID_Y_EN: 0
; COMPUTE_PGM_RSRC2:TGID_Z_EN: 0
; COMPUTE_PGM_RSRC2:TIDIG_COMP_CNT: 0
; COMPUTE_PGM_RSRC3_GFX90A:ACCUM_OFFSET: 0
; COMPUTE_PGM_RSRC3_GFX90A:TG_SPLIT: 0
	.section	.text._ZN7rocprim17ROCPRIM_400000_NS6detail17trampoline_kernelINS0_14default_configENS1_22reduce_config_selectorIfEEZNS1_11reduce_implILb1ES3_PfS7_fN6thrust23THRUST_200600_302600_NS7maximumIfEEEE10hipError_tPvRmT1_T2_T3_mT4_P12ihipStream_tbEUlT_E1_NS1_11comp_targetILNS1_3genE10ELNS1_11target_archE1200ELNS1_3gpuE4ELNS1_3repE0EEENS1_30default_config_static_selectorELNS0_4arch9wavefront6targetE1EEEvSF_,"axG",@progbits,_ZN7rocprim17ROCPRIM_400000_NS6detail17trampoline_kernelINS0_14default_configENS1_22reduce_config_selectorIfEEZNS1_11reduce_implILb1ES3_PfS7_fN6thrust23THRUST_200600_302600_NS7maximumIfEEEE10hipError_tPvRmT1_T2_T3_mT4_P12ihipStream_tbEUlT_E1_NS1_11comp_targetILNS1_3genE10ELNS1_11target_archE1200ELNS1_3gpuE4ELNS1_3repE0EEENS1_30default_config_static_selectorELNS0_4arch9wavefront6targetE1EEEvSF_,comdat
	.protected	_ZN7rocprim17ROCPRIM_400000_NS6detail17trampoline_kernelINS0_14default_configENS1_22reduce_config_selectorIfEEZNS1_11reduce_implILb1ES3_PfS7_fN6thrust23THRUST_200600_302600_NS7maximumIfEEEE10hipError_tPvRmT1_T2_T3_mT4_P12ihipStream_tbEUlT_E1_NS1_11comp_targetILNS1_3genE10ELNS1_11target_archE1200ELNS1_3gpuE4ELNS1_3repE0EEENS1_30default_config_static_selectorELNS0_4arch9wavefront6targetE1EEEvSF_ ; -- Begin function _ZN7rocprim17ROCPRIM_400000_NS6detail17trampoline_kernelINS0_14default_configENS1_22reduce_config_selectorIfEEZNS1_11reduce_implILb1ES3_PfS7_fN6thrust23THRUST_200600_302600_NS7maximumIfEEEE10hipError_tPvRmT1_T2_T3_mT4_P12ihipStream_tbEUlT_E1_NS1_11comp_targetILNS1_3genE10ELNS1_11target_archE1200ELNS1_3gpuE4ELNS1_3repE0EEENS1_30default_config_static_selectorELNS0_4arch9wavefront6targetE1EEEvSF_
	.globl	_ZN7rocprim17ROCPRIM_400000_NS6detail17trampoline_kernelINS0_14default_configENS1_22reduce_config_selectorIfEEZNS1_11reduce_implILb1ES3_PfS7_fN6thrust23THRUST_200600_302600_NS7maximumIfEEEE10hipError_tPvRmT1_T2_T3_mT4_P12ihipStream_tbEUlT_E1_NS1_11comp_targetILNS1_3genE10ELNS1_11target_archE1200ELNS1_3gpuE4ELNS1_3repE0EEENS1_30default_config_static_selectorELNS0_4arch9wavefront6targetE1EEEvSF_
	.p2align	8
	.type	_ZN7rocprim17ROCPRIM_400000_NS6detail17trampoline_kernelINS0_14default_configENS1_22reduce_config_selectorIfEEZNS1_11reduce_implILb1ES3_PfS7_fN6thrust23THRUST_200600_302600_NS7maximumIfEEEE10hipError_tPvRmT1_T2_T3_mT4_P12ihipStream_tbEUlT_E1_NS1_11comp_targetILNS1_3genE10ELNS1_11target_archE1200ELNS1_3gpuE4ELNS1_3repE0EEENS1_30default_config_static_selectorELNS0_4arch9wavefront6targetE1EEEvSF_,@function
_ZN7rocprim17ROCPRIM_400000_NS6detail17trampoline_kernelINS0_14default_configENS1_22reduce_config_selectorIfEEZNS1_11reduce_implILb1ES3_PfS7_fN6thrust23THRUST_200600_302600_NS7maximumIfEEEE10hipError_tPvRmT1_T2_T3_mT4_P12ihipStream_tbEUlT_E1_NS1_11comp_targetILNS1_3genE10ELNS1_11target_archE1200ELNS1_3gpuE4ELNS1_3repE0EEENS1_30default_config_static_selectorELNS0_4arch9wavefront6targetE1EEEvSF_: ; @_ZN7rocprim17ROCPRIM_400000_NS6detail17trampoline_kernelINS0_14default_configENS1_22reduce_config_selectorIfEEZNS1_11reduce_implILb1ES3_PfS7_fN6thrust23THRUST_200600_302600_NS7maximumIfEEEE10hipError_tPvRmT1_T2_T3_mT4_P12ihipStream_tbEUlT_E1_NS1_11comp_targetILNS1_3genE10ELNS1_11target_archE1200ELNS1_3gpuE4ELNS1_3repE0EEENS1_30default_config_static_selectorELNS0_4arch9wavefront6targetE1EEEvSF_
; %bb.0:
	.section	.rodata,"a",@progbits
	.p2align	6, 0x0
	.amdhsa_kernel _ZN7rocprim17ROCPRIM_400000_NS6detail17trampoline_kernelINS0_14default_configENS1_22reduce_config_selectorIfEEZNS1_11reduce_implILb1ES3_PfS7_fN6thrust23THRUST_200600_302600_NS7maximumIfEEEE10hipError_tPvRmT1_T2_T3_mT4_P12ihipStream_tbEUlT_E1_NS1_11comp_targetILNS1_3genE10ELNS1_11target_archE1200ELNS1_3gpuE4ELNS1_3repE0EEENS1_30default_config_static_selectorELNS0_4arch9wavefront6targetE1EEEvSF_
		.amdhsa_group_segment_fixed_size 0
		.amdhsa_private_segment_fixed_size 0
		.amdhsa_kernarg_size 40
		.amdhsa_user_sgpr_count 6
		.amdhsa_user_sgpr_private_segment_buffer 1
		.amdhsa_user_sgpr_dispatch_ptr 0
		.amdhsa_user_sgpr_queue_ptr 0
		.amdhsa_user_sgpr_kernarg_segment_ptr 1
		.amdhsa_user_sgpr_dispatch_id 0
		.amdhsa_user_sgpr_flat_scratch_init 0
		.amdhsa_user_sgpr_kernarg_preload_length 0
		.amdhsa_user_sgpr_kernarg_preload_offset 0
		.amdhsa_user_sgpr_private_segment_size 0
		.amdhsa_uses_dynamic_stack 0
		.amdhsa_system_sgpr_private_segment_wavefront_offset 0
		.amdhsa_system_sgpr_workgroup_id_x 1
		.amdhsa_system_sgpr_workgroup_id_y 0
		.amdhsa_system_sgpr_workgroup_id_z 0
		.amdhsa_system_sgpr_workgroup_info 0
		.amdhsa_system_vgpr_workitem_id 0
		.amdhsa_next_free_vgpr 1
		.amdhsa_next_free_sgpr 0
		.amdhsa_accum_offset 4
		.amdhsa_reserve_vcc 0
		.amdhsa_reserve_flat_scratch 0
		.amdhsa_float_round_mode_32 0
		.amdhsa_float_round_mode_16_64 0
		.amdhsa_float_denorm_mode_32 3
		.amdhsa_float_denorm_mode_16_64 3
		.amdhsa_dx10_clamp 1
		.amdhsa_ieee_mode 1
		.amdhsa_fp16_overflow 0
		.amdhsa_tg_split 0
		.amdhsa_exception_fp_ieee_invalid_op 0
		.amdhsa_exception_fp_denorm_src 0
		.amdhsa_exception_fp_ieee_div_zero 0
		.amdhsa_exception_fp_ieee_overflow 0
		.amdhsa_exception_fp_ieee_underflow 0
		.amdhsa_exception_fp_ieee_inexact 0
		.amdhsa_exception_int_div_zero 0
	.end_amdhsa_kernel
	.section	.text._ZN7rocprim17ROCPRIM_400000_NS6detail17trampoline_kernelINS0_14default_configENS1_22reduce_config_selectorIfEEZNS1_11reduce_implILb1ES3_PfS7_fN6thrust23THRUST_200600_302600_NS7maximumIfEEEE10hipError_tPvRmT1_T2_T3_mT4_P12ihipStream_tbEUlT_E1_NS1_11comp_targetILNS1_3genE10ELNS1_11target_archE1200ELNS1_3gpuE4ELNS1_3repE0EEENS1_30default_config_static_selectorELNS0_4arch9wavefront6targetE1EEEvSF_,"axG",@progbits,_ZN7rocprim17ROCPRIM_400000_NS6detail17trampoline_kernelINS0_14default_configENS1_22reduce_config_selectorIfEEZNS1_11reduce_implILb1ES3_PfS7_fN6thrust23THRUST_200600_302600_NS7maximumIfEEEE10hipError_tPvRmT1_T2_T3_mT4_P12ihipStream_tbEUlT_E1_NS1_11comp_targetILNS1_3genE10ELNS1_11target_archE1200ELNS1_3gpuE4ELNS1_3repE0EEENS1_30default_config_static_selectorELNS0_4arch9wavefront6targetE1EEEvSF_,comdat
.Lfunc_end16:
	.size	_ZN7rocprim17ROCPRIM_400000_NS6detail17trampoline_kernelINS0_14default_configENS1_22reduce_config_selectorIfEEZNS1_11reduce_implILb1ES3_PfS7_fN6thrust23THRUST_200600_302600_NS7maximumIfEEEE10hipError_tPvRmT1_T2_T3_mT4_P12ihipStream_tbEUlT_E1_NS1_11comp_targetILNS1_3genE10ELNS1_11target_archE1200ELNS1_3gpuE4ELNS1_3repE0EEENS1_30default_config_static_selectorELNS0_4arch9wavefront6targetE1EEEvSF_, .Lfunc_end16-_ZN7rocprim17ROCPRIM_400000_NS6detail17trampoline_kernelINS0_14default_configENS1_22reduce_config_selectorIfEEZNS1_11reduce_implILb1ES3_PfS7_fN6thrust23THRUST_200600_302600_NS7maximumIfEEEE10hipError_tPvRmT1_T2_T3_mT4_P12ihipStream_tbEUlT_E1_NS1_11comp_targetILNS1_3genE10ELNS1_11target_archE1200ELNS1_3gpuE4ELNS1_3repE0EEENS1_30default_config_static_selectorELNS0_4arch9wavefront6targetE1EEEvSF_
                                        ; -- End function
	.section	.AMDGPU.csdata,"",@progbits
; Kernel info:
; codeLenInByte = 0
; NumSgprs: 4
; NumVgprs: 0
; NumAgprs: 0
; TotalNumVgprs: 0
; ScratchSize: 0
; MemoryBound: 0
; FloatMode: 240
; IeeeMode: 1
; LDSByteSize: 0 bytes/workgroup (compile time only)
; SGPRBlocks: 0
; VGPRBlocks: 0
; NumSGPRsForWavesPerEU: 4
; NumVGPRsForWavesPerEU: 1
; AccumOffset: 4
; Occupancy: 8
; WaveLimiterHint : 0
; COMPUTE_PGM_RSRC2:SCRATCH_EN: 0
; COMPUTE_PGM_RSRC2:USER_SGPR: 6
; COMPUTE_PGM_RSRC2:TRAP_HANDLER: 0
; COMPUTE_PGM_RSRC2:TGID_X_EN: 1
; COMPUTE_PGM_RSRC2:TGID_Y_EN: 0
; COMPUTE_PGM_RSRC2:TGID_Z_EN: 0
; COMPUTE_PGM_RSRC2:TIDIG_COMP_CNT: 0
; COMPUTE_PGM_RSRC3_GFX90A:ACCUM_OFFSET: 0
; COMPUTE_PGM_RSRC3_GFX90A:TG_SPLIT: 0
	.section	.text._ZN7rocprim17ROCPRIM_400000_NS6detail17trampoline_kernelINS0_14default_configENS1_22reduce_config_selectorIfEEZNS1_11reduce_implILb1ES3_PfS7_fN6thrust23THRUST_200600_302600_NS7maximumIfEEEE10hipError_tPvRmT1_T2_T3_mT4_P12ihipStream_tbEUlT_E1_NS1_11comp_targetILNS1_3genE9ELNS1_11target_archE1100ELNS1_3gpuE3ELNS1_3repE0EEENS1_30default_config_static_selectorELNS0_4arch9wavefront6targetE1EEEvSF_,"axG",@progbits,_ZN7rocprim17ROCPRIM_400000_NS6detail17trampoline_kernelINS0_14default_configENS1_22reduce_config_selectorIfEEZNS1_11reduce_implILb1ES3_PfS7_fN6thrust23THRUST_200600_302600_NS7maximumIfEEEE10hipError_tPvRmT1_T2_T3_mT4_P12ihipStream_tbEUlT_E1_NS1_11comp_targetILNS1_3genE9ELNS1_11target_archE1100ELNS1_3gpuE3ELNS1_3repE0EEENS1_30default_config_static_selectorELNS0_4arch9wavefront6targetE1EEEvSF_,comdat
	.protected	_ZN7rocprim17ROCPRIM_400000_NS6detail17trampoline_kernelINS0_14default_configENS1_22reduce_config_selectorIfEEZNS1_11reduce_implILb1ES3_PfS7_fN6thrust23THRUST_200600_302600_NS7maximumIfEEEE10hipError_tPvRmT1_T2_T3_mT4_P12ihipStream_tbEUlT_E1_NS1_11comp_targetILNS1_3genE9ELNS1_11target_archE1100ELNS1_3gpuE3ELNS1_3repE0EEENS1_30default_config_static_selectorELNS0_4arch9wavefront6targetE1EEEvSF_ ; -- Begin function _ZN7rocprim17ROCPRIM_400000_NS6detail17trampoline_kernelINS0_14default_configENS1_22reduce_config_selectorIfEEZNS1_11reduce_implILb1ES3_PfS7_fN6thrust23THRUST_200600_302600_NS7maximumIfEEEE10hipError_tPvRmT1_T2_T3_mT4_P12ihipStream_tbEUlT_E1_NS1_11comp_targetILNS1_3genE9ELNS1_11target_archE1100ELNS1_3gpuE3ELNS1_3repE0EEENS1_30default_config_static_selectorELNS0_4arch9wavefront6targetE1EEEvSF_
	.globl	_ZN7rocprim17ROCPRIM_400000_NS6detail17trampoline_kernelINS0_14default_configENS1_22reduce_config_selectorIfEEZNS1_11reduce_implILb1ES3_PfS7_fN6thrust23THRUST_200600_302600_NS7maximumIfEEEE10hipError_tPvRmT1_T2_T3_mT4_P12ihipStream_tbEUlT_E1_NS1_11comp_targetILNS1_3genE9ELNS1_11target_archE1100ELNS1_3gpuE3ELNS1_3repE0EEENS1_30default_config_static_selectorELNS0_4arch9wavefront6targetE1EEEvSF_
	.p2align	8
	.type	_ZN7rocprim17ROCPRIM_400000_NS6detail17trampoline_kernelINS0_14default_configENS1_22reduce_config_selectorIfEEZNS1_11reduce_implILb1ES3_PfS7_fN6thrust23THRUST_200600_302600_NS7maximumIfEEEE10hipError_tPvRmT1_T2_T3_mT4_P12ihipStream_tbEUlT_E1_NS1_11comp_targetILNS1_3genE9ELNS1_11target_archE1100ELNS1_3gpuE3ELNS1_3repE0EEENS1_30default_config_static_selectorELNS0_4arch9wavefront6targetE1EEEvSF_,@function
_ZN7rocprim17ROCPRIM_400000_NS6detail17trampoline_kernelINS0_14default_configENS1_22reduce_config_selectorIfEEZNS1_11reduce_implILb1ES3_PfS7_fN6thrust23THRUST_200600_302600_NS7maximumIfEEEE10hipError_tPvRmT1_T2_T3_mT4_P12ihipStream_tbEUlT_E1_NS1_11comp_targetILNS1_3genE9ELNS1_11target_archE1100ELNS1_3gpuE3ELNS1_3repE0EEENS1_30default_config_static_selectorELNS0_4arch9wavefront6targetE1EEEvSF_: ; @_ZN7rocprim17ROCPRIM_400000_NS6detail17trampoline_kernelINS0_14default_configENS1_22reduce_config_selectorIfEEZNS1_11reduce_implILb1ES3_PfS7_fN6thrust23THRUST_200600_302600_NS7maximumIfEEEE10hipError_tPvRmT1_T2_T3_mT4_P12ihipStream_tbEUlT_E1_NS1_11comp_targetILNS1_3genE9ELNS1_11target_archE1100ELNS1_3gpuE3ELNS1_3repE0EEENS1_30default_config_static_selectorELNS0_4arch9wavefront6targetE1EEEvSF_
; %bb.0:
	.section	.rodata,"a",@progbits
	.p2align	6, 0x0
	.amdhsa_kernel _ZN7rocprim17ROCPRIM_400000_NS6detail17trampoline_kernelINS0_14default_configENS1_22reduce_config_selectorIfEEZNS1_11reduce_implILb1ES3_PfS7_fN6thrust23THRUST_200600_302600_NS7maximumIfEEEE10hipError_tPvRmT1_T2_T3_mT4_P12ihipStream_tbEUlT_E1_NS1_11comp_targetILNS1_3genE9ELNS1_11target_archE1100ELNS1_3gpuE3ELNS1_3repE0EEENS1_30default_config_static_selectorELNS0_4arch9wavefront6targetE1EEEvSF_
		.amdhsa_group_segment_fixed_size 0
		.amdhsa_private_segment_fixed_size 0
		.amdhsa_kernarg_size 40
		.amdhsa_user_sgpr_count 6
		.amdhsa_user_sgpr_private_segment_buffer 1
		.amdhsa_user_sgpr_dispatch_ptr 0
		.amdhsa_user_sgpr_queue_ptr 0
		.amdhsa_user_sgpr_kernarg_segment_ptr 1
		.amdhsa_user_sgpr_dispatch_id 0
		.amdhsa_user_sgpr_flat_scratch_init 0
		.amdhsa_user_sgpr_kernarg_preload_length 0
		.amdhsa_user_sgpr_kernarg_preload_offset 0
		.amdhsa_user_sgpr_private_segment_size 0
		.amdhsa_uses_dynamic_stack 0
		.amdhsa_system_sgpr_private_segment_wavefront_offset 0
		.amdhsa_system_sgpr_workgroup_id_x 1
		.amdhsa_system_sgpr_workgroup_id_y 0
		.amdhsa_system_sgpr_workgroup_id_z 0
		.amdhsa_system_sgpr_workgroup_info 0
		.amdhsa_system_vgpr_workitem_id 0
		.amdhsa_next_free_vgpr 1
		.amdhsa_next_free_sgpr 0
		.amdhsa_accum_offset 4
		.amdhsa_reserve_vcc 0
		.amdhsa_reserve_flat_scratch 0
		.amdhsa_float_round_mode_32 0
		.amdhsa_float_round_mode_16_64 0
		.amdhsa_float_denorm_mode_32 3
		.amdhsa_float_denorm_mode_16_64 3
		.amdhsa_dx10_clamp 1
		.amdhsa_ieee_mode 1
		.amdhsa_fp16_overflow 0
		.amdhsa_tg_split 0
		.amdhsa_exception_fp_ieee_invalid_op 0
		.amdhsa_exception_fp_denorm_src 0
		.amdhsa_exception_fp_ieee_div_zero 0
		.amdhsa_exception_fp_ieee_overflow 0
		.amdhsa_exception_fp_ieee_underflow 0
		.amdhsa_exception_fp_ieee_inexact 0
		.amdhsa_exception_int_div_zero 0
	.end_amdhsa_kernel
	.section	.text._ZN7rocprim17ROCPRIM_400000_NS6detail17trampoline_kernelINS0_14default_configENS1_22reduce_config_selectorIfEEZNS1_11reduce_implILb1ES3_PfS7_fN6thrust23THRUST_200600_302600_NS7maximumIfEEEE10hipError_tPvRmT1_T2_T3_mT4_P12ihipStream_tbEUlT_E1_NS1_11comp_targetILNS1_3genE9ELNS1_11target_archE1100ELNS1_3gpuE3ELNS1_3repE0EEENS1_30default_config_static_selectorELNS0_4arch9wavefront6targetE1EEEvSF_,"axG",@progbits,_ZN7rocprim17ROCPRIM_400000_NS6detail17trampoline_kernelINS0_14default_configENS1_22reduce_config_selectorIfEEZNS1_11reduce_implILb1ES3_PfS7_fN6thrust23THRUST_200600_302600_NS7maximumIfEEEE10hipError_tPvRmT1_T2_T3_mT4_P12ihipStream_tbEUlT_E1_NS1_11comp_targetILNS1_3genE9ELNS1_11target_archE1100ELNS1_3gpuE3ELNS1_3repE0EEENS1_30default_config_static_selectorELNS0_4arch9wavefront6targetE1EEEvSF_,comdat
.Lfunc_end17:
	.size	_ZN7rocprim17ROCPRIM_400000_NS6detail17trampoline_kernelINS0_14default_configENS1_22reduce_config_selectorIfEEZNS1_11reduce_implILb1ES3_PfS7_fN6thrust23THRUST_200600_302600_NS7maximumIfEEEE10hipError_tPvRmT1_T2_T3_mT4_P12ihipStream_tbEUlT_E1_NS1_11comp_targetILNS1_3genE9ELNS1_11target_archE1100ELNS1_3gpuE3ELNS1_3repE0EEENS1_30default_config_static_selectorELNS0_4arch9wavefront6targetE1EEEvSF_, .Lfunc_end17-_ZN7rocprim17ROCPRIM_400000_NS6detail17trampoline_kernelINS0_14default_configENS1_22reduce_config_selectorIfEEZNS1_11reduce_implILb1ES3_PfS7_fN6thrust23THRUST_200600_302600_NS7maximumIfEEEE10hipError_tPvRmT1_T2_T3_mT4_P12ihipStream_tbEUlT_E1_NS1_11comp_targetILNS1_3genE9ELNS1_11target_archE1100ELNS1_3gpuE3ELNS1_3repE0EEENS1_30default_config_static_selectorELNS0_4arch9wavefront6targetE1EEEvSF_
                                        ; -- End function
	.section	.AMDGPU.csdata,"",@progbits
; Kernel info:
; codeLenInByte = 0
; NumSgprs: 4
; NumVgprs: 0
; NumAgprs: 0
; TotalNumVgprs: 0
; ScratchSize: 0
; MemoryBound: 0
; FloatMode: 240
; IeeeMode: 1
; LDSByteSize: 0 bytes/workgroup (compile time only)
; SGPRBlocks: 0
; VGPRBlocks: 0
; NumSGPRsForWavesPerEU: 4
; NumVGPRsForWavesPerEU: 1
; AccumOffset: 4
; Occupancy: 8
; WaveLimiterHint : 0
; COMPUTE_PGM_RSRC2:SCRATCH_EN: 0
; COMPUTE_PGM_RSRC2:USER_SGPR: 6
; COMPUTE_PGM_RSRC2:TRAP_HANDLER: 0
; COMPUTE_PGM_RSRC2:TGID_X_EN: 1
; COMPUTE_PGM_RSRC2:TGID_Y_EN: 0
; COMPUTE_PGM_RSRC2:TGID_Z_EN: 0
; COMPUTE_PGM_RSRC2:TIDIG_COMP_CNT: 0
; COMPUTE_PGM_RSRC3_GFX90A:ACCUM_OFFSET: 0
; COMPUTE_PGM_RSRC3_GFX90A:TG_SPLIT: 0
	.section	.text._ZN7rocprim17ROCPRIM_400000_NS6detail17trampoline_kernelINS0_14default_configENS1_22reduce_config_selectorIfEEZNS1_11reduce_implILb1ES3_PfS7_fN6thrust23THRUST_200600_302600_NS7maximumIfEEEE10hipError_tPvRmT1_T2_T3_mT4_P12ihipStream_tbEUlT_E1_NS1_11comp_targetILNS1_3genE8ELNS1_11target_archE1030ELNS1_3gpuE2ELNS1_3repE0EEENS1_30default_config_static_selectorELNS0_4arch9wavefront6targetE1EEEvSF_,"axG",@progbits,_ZN7rocprim17ROCPRIM_400000_NS6detail17trampoline_kernelINS0_14default_configENS1_22reduce_config_selectorIfEEZNS1_11reduce_implILb1ES3_PfS7_fN6thrust23THRUST_200600_302600_NS7maximumIfEEEE10hipError_tPvRmT1_T2_T3_mT4_P12ihipStream_tbEUlT_E1_NS1_11comp_targetILNS1_3genE8ELNS1_11target_archE1030ELNS1_3gpuE2ELNS1_3repE0EEENS1_30default_config_static_selectorELNS0_4arch9wavefront6targetE1EEEvSF_,comdat
	.protected	_ZN7rocprim17ROCPRIM_400000_NS6detail17trampoline_kernelINS0_14default_configENS1_22reduce_config_selectorIfEEZNS1_11reduce_implILb1ES3_PfS7_fN6thrust23THRUST_200600_302600_NS7maximumIfEEEE10hipError_tPvRmT1_T2_T3_mT4_P12ihipStream_tbEUlT_E1_NS1_11comp_targetILNS1_3genE8ELNS1_11target_archE1030ELNS1_3gpuE2ELNS1_3repE0EEENS1_30default_config_static_selectorELNS0_4arch9wavefront6targetE1EEEvSF_ ; -- Begin function _ZN7rocprim17ROCPRIM_400000_NS6detail17trampoline_kernelINS0_14default_configENS1_22reduce_config_selectorIfEEZNS1_11reduce_implILb1ES3_PfS7_fN6thrust23THRUST_200600_302600_NS7maximumIfEEEE10hipError_tPvRmT1_T2_T3_mT4_P12ihipStream_tbEUlT_E1_NS1_11comp_targetILNS1_3genE8ELNS1_11target_archE1030ELNS1_3gpuE2ELNS1_3repE0EEENS1_30default_config_static_selectorELNS0_4arch9wavefront6targetE1EEEvSF_
	.globl	_ZN7rocprim17ROCPRIM_400000_NS6detail17trampoline_kernelINS0_14default_configENS1_22reduce_config_selectorIfEEZNS1_11reduce_implILb1ES3_PfS7_fN6thrust23THRUST_200600_302600_NS7maximumIfEEEE10hipError_tPvRmT1_T2_T3_mT4_P12ihipStream_tbEUlT_E1_NS1_11comp_targetILNS1_3genE8ELNS1_11target_archE1030ELNS1_3gpuE2ELNS1_3repE0EEENS1_30default_config_static_selectorELNS0_4arch9wavefront6targetE1EEEvSF_
	.p2align	8
	.type	_ZN7rocprim17ROCPRIM_400000_NS6detail17trampoline_kernelINS0_14default_configENS1_22reduce_config_selectorIfEEZNS1_11reduce_implILb1ES3_PfS7_fN6thrust23THRUST_200600_302600_NS7maximumIfEEEE10hipError_tPvRmT1_T2_T3_mT4_P12ihipStream_tbEUlT_E1_NS1_11comp_targetILNS1_3genE8ELNS1_11target_archE1030ELNS1_3gpuE2ELNS1_3repE0EEENS1_30default_config_static_selectorELNS0_4arch9wavefront6targetE1EEEvSF_,@function
_ZN7rocprim17ROCPRIM_400000_NS6detail17trampoline_kernelINS0_14default_configENS1_22reduce_config_selectorIfEEZNS1_11reduce_implILb1ES3_PfS7_fN6thrust23THRUST_200600_302600_NS7maximumIfEEEE10hipError_tPvRmT1_T2_T3_mT4_P12ihipStream_tbEUlT_E1_NS1_11comp_targetILNS1_3genE8ELNS1_11target_archE1030ELNS1_3gpuE2ELNS1_3repE0EEENS1_30default_config_static_selectorELNS0_4arch9wavefront6targetE1EEEvSF_: ; @_ZN7rocprim17ROCPRIM_400000_NS6detail17trampoline_kernelINS0_14default_configENS1_22reduce_config_selectorIfEEZNS1_11reduce_implILb1ES3_PfS7_fN6thrust23THRUST_200600_302600_NS7maximumIfEEEE10hipError_tPvRmT1_T2_T3_mT4_P12ihipStream_tbEUlT_E1_NS1_11comp_targetILNS1_3genE8ELNS1_11target_archE1030ELNS1_3gpuE2ELNS1_3repE0EEENS1_30default_config_static_selectorELNS0_4arch9wavefront6targetE1EEEvSF_
; %bb.0:
	.section	.rodata,"a",@progbits
	.p2align	6, 0x0
	.amdhsa_kernel _ZN7rocprim17ROCPRIM_400000_NS6detail17trampoline_kernelINS0_14default_configENS1_22reduce_config_selectorIfEEZNS1_11reduce_implILb1ES3_PfS7_fN6thrust23THRUST_200600_302600_NS7maximumIfEEEE10hipError_tPvRmT1_T2_T3_mT4_P12ihipStream_tbEUlT_E1_NS1_11comp_targetILNS1_3genE8ELNS1_11target_archE1030ELNS1_3gpuE2ELNS1_3repE0EEENS1_30default_config_static_selectorELNS0_4arch9wavefront6targetE1EEEvSF_
		.amdhsa_group_segment_fixed_size 0
		.amdhsa_private_segment_fixed_size 0
		.amdhsa_kernarg_size 40
		.amdhsa_user_sgpr_count 6
		.amdhsa_user_sgpr_private_segment_buffer 1
		.amdhsa_user_sgpr_dispatch_ptr 0
		.amdhsa_user_sgpr_queue_ptr 0
		.amdhsa_user_sgpr_kernarg_segment_ptr 1
		.amdhsa_user_sgpr_dispatch_id 0
		.amdhsa_user_sgpr_flat_scratch_init 0
		.amdhsa_user_sgpr_kernarg_preload_length 0
		.amdhsa_user_sgpr_kernarg_preload_offset 0
		.amdhsa_user_sgpr_private_segment_size 0
		.amdhsa_uses_dynamic_stack 0
		.amdhsa_system_sgpr_private_segment_wavefront_offset 0
		.amdhsa_system_sgpr_workgroup_id_x 1
		.amdhsa_system_sgpr_workgroup_id_y 0
		.amdhsa_system_sgpr_workgroup_id_z 0
		.amdhsa_system_sgpr_workgroup_info 0
		.amdhsa_system_vgpr_workitem_id 0
		.amdhsa_next_free_vgpr 1
		.amdhsa_next_free_sgpr 0
		.amdhsa_accum_offset 4
		.amdhsa_reserve_vcc 0
		.amdhsa_reserve_flat_scratch 0
		.amdhsa_float_round_mode_32 0
		.amdhsa_float_round_mode_16_64 0
		.amdhsa_float_denorm_mode_32 3
		.amdhsa_float_denorm_mode_16_64 3
		.amdhsa_dx10_clamp 1
		.amdhsa_ieee_mode 1
		.amdhsa_fp16_overflow 0
		.amdhsa_tg_split 0
		.amdhsa_exception_fp_ieee_invalid_op 0
		.amdhsa_exception_fp_denorm_src 0
		.amdhsa_exception_fp_ieee_div_zero 0
		.amdhsa_exception_fp_ieee_overflow 0
		.amdhsa_exception_fp_ieee_underflow 0
		.amdhsa_exception_fp_ieee_inexact 0
		.amdhsa_exception_int_div_zero 0
	.end_amdhsa_kernel
	.section	.text._ZN7rocprim17ROCPRIM_400000_NS6detail17trampoline_kernelINS0_14default_configENS1_22reduce_config_selectorIfEEZNS1_11reduce_implILb1ES3_PfS7_fN6thrust23THRUST_200600_302600_NS7maximumIfEEEE10hipError_tPvRmT1_T2_T3_mT4_P12ihipStream_tbEUlT_E1_NS1_11comp_targetILNS1_3genE8ELNS1_11target_archE1030ELNS1_3gpuE2ELNS1_3repE0EEENS1_30default_config_static_selectorELNS0_4arch9wavefront6targetE1EEEvSF_,"axG",@progbits,_ZN7rocprim17ROCPRIM_400000_NS6detail17trampoline_kernelINS0_14default_configENS1_22reduce_config_selectorIfEEZNS1_11reduce_implILb1ES3_PfS7_fN6thrust23THRUST_200600_302600_NS7maximumIfEEEE10hipError_tPvRmT1_T2_T3_mT4_P12ihipStream_tbEUlT_E1_NS1_11comp_targetILNS1_3genE8ELNS1_11target_archE1030ELNS1_3gpuE2ELNS1_3repE0EEENS1_30default_config_static_selectorELNS0_4arch9wavefront6targetE1EEEvSF_,comdat
.Lfunc_end18:
	.size	_ZN7rocprim17ROCPRIM_400000_NS6detail17trampoline_kernelINS0_14default_configENS1_22reduce_config_selectorIfEEZNS1_11reduce_implILb1ES3_PfS7_fN6thrust23THRUST_200600_302600_NS7maximumIfEEEE10hipError_tPvRmT1_T2_T3_mT4_P12ihipStream_tbEUlT_E1_NS1_11comp_targetILNS1_3genE8ELNS1_11target_archE1030ELNS1_3gpuE2ELNS1_3repE0EEENS1_30default_config_static_selectorELNS0_4arch9wavefront6targetE1EEEvSF_, .Lfunc_end18-_ZN7rocprim17ROCPRIM_400000_NS6detail17trampoline_kernelINS0_14default_configENS1_22reduce_config_selectorIfEEZNS1_11reduce_implILb1ES3_PfS7_fN6thrust23THRUST_200600_302600_NS7maximumIfEEEE10hipError_tPvRmT1_T2_T3_mT4_P12ihipStream_tbEUlT_E1_NS1_11comp_targetILNS1_3genE8ELNS1_11target_archE1030ELNS1_3gpuE2ELNS1_3repE0EEENS1_30default_config_static_selectorELNS0_4arch9wavefront6targetE1EEEvSF_
                                        ; -- End function
	.section	.AMDGPU.csdata,"",@progbits
; Kernel info:
; codeLenInByte = 0
; NumSgprs: 4
; NumVgprs: 0
; NumAgprs: 0
; TotalNumVgprs: 0
; ScratchSize: 0
; MemoryBound: 0
; FloatMode: 240
; IeeeMode: 1
; LDSByteSize: 0 bytes/workgroup (compile time only)
; SGPRBlocks: 0
; VGPRBlocks: 0
; NumSGPRsForWavesPerEU: 4
; NumVGPRsForWavesPerEU: 1
; AccumOffset: 4
; Occupancy: 8
; WaveLimiterHint : 0
; COMPUTE_PGM_RSRC2:SCRATCH_EN: 0
; COMPUTE_PGM_RSRC2:USER_SGPR: 6
; COMPUTE_PGM_RSRC2:TRAP_HANDLER: 0
; COMPUTE_PGM_RSRC2:TGID_X_EN: 1
; COMPUTE_PGM_RSRC2:TGID_Y_EN: 0
; COMPUTE_PGM_RSRC2:TGID_Z_EN: 0
; COMPUTE_PGM_RSRC2:TIDIG_COMP_CNT: 0
; COMPUTE_PGM_RSRC3_GFX90A:ACCUM_OFFSET: 0
; COMPUTE_PGM_RSRC3_GFX90A:TG_SPLIT: 0
	.section	.text._ZN7rocprim17ROCPRIM_400000_NS6detail17trampoline_kernelINS0_14default_configENS1_22reduce_config_selectorIfEEZNS1_11reduce_implILb1ES3_N6thrust23THRUST_200600_302600_NS11hip_rocprim35transform_pair_of_input_iterators_tIfNS8_6detail15normal_iteratorINS8_10device_ptrIfEEEESF_8abs_diffIfEEEPffNS8_7maximumIfEEEE10hipError_tPvRmT1_T2_T3_mT4_P12ihipStream_tbEUlT_E0_NS1_11comp_targetILNS1_3genE0ELNS1_11target_archE4294967295ELNS1_3gpuE0ELNS1_3repE0EEENS1_30default_config_static_selectorELNS0_4arch9wavefront6targetE1EEEvSP_,"axG",@progbits,_ZN7rocprim17ROCPRIM_400000_NS6detail17trampoline_kernelINS0_14default_configENS1_22reduce_config_selectorIfEEZNS1_11reduce_implILb1ES3_N6thrust23THRUST_200600_302600_NS11hip_rocprim35transform_pair_of_input_iterators_tIfNS8_6detail15normal_iteratorINS8_10device_ptrIfEEEESF_8abs_diffIfEEEPffNS8_7maximumIfEEEE10hipError_tPvRmT1_T2_T3_mT4_P12ihipStream_tbEUlT_E0_NS1_11comp_targetILNS1_3genE0ELNS1_11target_archE4294967295ELNS1_3gpuE0ELNS1_3repE0EEENS1_30default_config_static_selectorELNS0_4arch9wavefront6targetE1EEEvSP_,comdat
	.protected	_ZN7rocprim17ROCPRIM_400000_NS6detail17trampoline_kernelINS0_14default_configENS1_22reduce_config_selectorIfEEZNS1_11reduce_implILb1ES3_N6thrust23THRUST_200600_302600_NS11hip_rocprim35transform_pair_of_input_iterators_tIfNS8_6detail15normal_iteratorINS8_10device_ptrIfEEEESF_8abs_diffIfEEEPffNS8_7maximumIfEEEE10hipError_tPvRmT1_T2_T3_mT4_P12ihipStream_tbEUlT_E0_NS1_11comp_targetILNS1_3genE0ELNS1_11target_archE4294967295ELNS1_3gpuE0ELNS1_3repE0EEENS1_30default_config_static_selectorELNS0_4arch9wavefront6targetE1EEEvSP_ ; -- Begin function _ZN7rocprim17ROCPRIM_400000_NS6detail17trampoline_kernelINS0_14default_configENS1_22reduce_config_selectorIfEEZNS1_11reduce_implILb1ES3_N6thrust23THRUST_200600_302600_NS11hip_rocprim35transform_pair_of_input_iterators_tIfNS8_6detail15normal_iteratorINS8_10device_ptrIfEEEESF_8abs_diffIfEEEPffNS8_7maximumIfEEEE10hipError_tPvRmT1_T2_T3_mT4_P12ihipStream_tbEUlT_E0_NS1_11comp_targetILNS1_3genE0ELNS1_11target_archE4294967295ELNS1_3gpuE0ELNS1_3repE0EEENS1_30default_config_static_selectorELNS0_4arch9wavefront6targetE1EEEvSP_
	.globl	_ZN7rocprim17ROCPRIM_400000_NS6detail17trampoline_kernelINS0_14default_configENS1_22reduce_config_selectorIfEEZNS1_11reduce_implILb1ES3_N6thrust23THRUST_200600_302600_NS11hip_rocprim35transform_pair_of_input_iterators_tIfNS8_6detail15normal_iteratorINS8_10device_ptrIfEEEESF_8abs_diffIfEEEPffNS8_7maximumIfEEEE10hipError_tPvRmT1_T2_T3_mT4_P12ihipStream_tbEUlT_E0_NS1_11comp_targetILNS1_3genE0ELNS1_11target_archE4294967295ELNS1_3gpuE0ELNS1_3repE0EEENS1_30default_config_static_selectorELNS0_4arch9wavefront6targetE1EEEvSP_
	.p2align	8
	.type	_ZN7rocprim17ROCPRIM_400000_NS6detail17trampoline_kernelINS0_14default_configENS1_22reduce_config_selectorIfEEZNS1_11reduce_implILb1ES3_N6thrust23THRUST_200600_302600_NS11hip_rocprim35transform_pair_of_input_iterators_tIfNS8_6detail15normal_iteratorINS8_10device_ptrIfEEEESF_8abs_diffIfEEEPffNS8_7maximumIfEEEE10hipError_tPvRmT1_T2_T3_mT4_P12ihipStream_tbEUlT_E0_NS1_11comp_targetILNS1_3genE0ELNS1_11target_archE4294967295ELNS1_3gpuE0ELNS1_3repE0EEENS1_30default_config_static_selectorELNS0_4arch9wavefront6targetE1EEEvSP_,@function
_ZN7rocprim17ROCPRIM_400000_NS6detail17trampoline_kernelINS0_14default_configENS1_22reduce_config_selectorIfEEZNS1_11reduce_implILb1ES3_N6thrust23THRUST_200600_302600_NS11hip_rocprim35transform_pair_of_input_iterators_tIfNS8_6detail15normal_iteratorINS8_10device_ptrIfEEEESF_8abs_diffIfEEEPffNS8_7maximumIfEEEE10hipError_tPvRmT1_T2_T3_mT4_P12ihipStream_tbEUlT_E0_NS1_11comp_targetILNS1_3genE0ELNS1_11target_archE4294967295ELNS1_3gpuE0ELNS1_3repE0EEENS1_30default_config_static_selectorELNS0_4arch9wavefront6targetE1EEEvSP_: ; @_ZN7rocprim17ROCPRIM_400000_NS6detail17trampoline_kernelINS0_14default_configENS1_22reduce_config_selectorIfEEZNS1_11reduce_implILb1ES3_N6thrust23THRUST_200600_302600_NS11hip_rocprim35transform_pair_of_input_iterators_tIfNS8_6detail15normal_iteratorINS8_10device_ptrIfEEEESF_8abs_diffIfEEEPffNS8_7maximumIfEEEE10hipError_tPvRmT1_T2_T3_mT4_P12ihipStream_tbEUlT_E0_NS1_11comp_targetILNS1_3genE0ELNS1_11target_archE4294967295ELNS1_3gpuE0ELNS1_3repE0EEENS1_30default_config_static_selectorELNS0_4arch9wavefront6targetE1EEEvSP_
; %bb.0:
	.section	.rodata,"a",@progbits
	.p2align	6, 0x0
	.amdhsa_kernel _ZN7rocprim17ROCPRIM_400000_NS6detail17trampoline_kernelINS0_14default_configENS1_22reduce_config_selectorIfEEZNS1_11reduce_implILb1ES3_N6thrust23THRUST_200600_302600_NS11hip_rocprim35transform_pair_of_input_iterators_tIfNS8_6detail15normal_iteratorINS8_10device_ptrIfEEEESF_8abs_diffIfEEEPffNS8_7maximumIfEEEE10hipError_tPvRmT1_T2_T3_mT4_P12ihipStream_tbEUlT_E0_NS1_11comp_targetILNS1_3genE0ELNS1_11target_archE4294967295ELNS1_3gpuE0ELNS1_3repE0EEENS1_30default_config_static_selectorELNS0_4arch9wavefront6targetE1EEEvSP_
		.amdhsa_group_segment_fixed_size 0
		.amdhsa_private_segment_fixed_size 0
		.amdhsa_kernarg_size 72
		.amdhsa_user_sgpr_count 6
		.amdhsa_user_sgpr_private_segment_buffer 1
		.amdhsa_user_sgpr_dispatch_ptr 0
		.amdhsa_user_sgpr_queue_ptr 0
		.amdhsa_user_sgpr_kernarg_segment_ptr 1
		.amdhsa_user_sgpr_dispatch_id 0
		.amdhsa_user_sgpr_flat_scratch_init 0
		.amdhsa_user_sgpr_kernarg_preload_length 0
		.amdhsa_user_sgpr_kernarg_preload_offset 0
		.amdhsa_user_sgpr_private_segment_size 0
		.amdhsa_uses_dynamic_stack 0
		.amdhsa_system_sgpr_private_segment_wavefront_offset 0
		.amdhsa_system_sgpr_workgroup_id_x 1
		.amdhsa_system_sgpr_workgroup_id_y 0
		.amdhsa_system_sgpr_workgroup_id_z 0
		.amdhsa_system_sgpr_workgroup_info 0
		.amdhsa_system_vgpr_workitem_id 0
		.amdhsa_next_free_vgpr 1
		.amdhsa_next_free_sgpr 0
		.amdhsa_accum_offset 4
		.amdhsa_reserve_vcc 0
		.amdhsa_reserve_flat_scratch 0
		.amdhsa_float_round_mode_32 0
		.amdhsa_float_round_mode_16_64 0
		.amdhsa_float_denorm_mode_32 3
		.amdhsa_float_denorm_mode_16_64 3
		.amdhsa_dx10_clamp 1
		.amdhsa_ieee_mode 1
		.amdhsa_fp16_overflow 0
		.amdhsa_tg_split 0
		.amdhsa_exception_fp_ieee_invalid_op 0
		.amdhsa_exception_fp_denorm_src 0
		.amdhsa_exception_fp_ieee_div_zero 0
		.amdhsa_exception_fp_ieee_overflow 0
		.amdhsa_exception_fp_ieee_underflow 0
		.amdhsa_exception_fp_ieee_inexact 0
		.amdhsa_exception_int_div_zero 0
	.end_amdhsa_kernel
	.section	.text._ZN7rocprim17ROCPRIM_400000_NS6detail17trampoline_kernelINS0_14default_configENS1_22reduce_config_selectorIfEEZNS1_11reduce_implILb1ES3_N6thrust23THRUST_200600_302600_NS11hip_rocprim35transform_pair_of_input_iterators_tIfNS8_6detail15normal_iteratorINS8_10device_ptrIfEEEESF_8abs_diffIfEEEPffNS8_7maximumIfEEEE10hipError_tPvRmT1_T2_T3_mT4_P12ihipStream_tbEUlT_E0_NS1_11comp_targetILNS1_3genE0ELNS1_11target_archE4294967295ELNS1_3gpuE0ELNS1_3repE0EEENS1_30default_config_static_selectorELNS0_4arch9wavefront6targetE1EEEvSP_,"axG",@progbits,_ZN7rocprim17ROCPRIM_400000_NS6detail17trampoline_kernelINS0_14default_configENS1_22reduce_config_selectorIfEEZNS1_11reduce_implILb1ES3_N6thrust23THRUST_200600_302600_NS11hip_rocprim35transform_pair_of_input_iterators_tIfNS8_6detail15normal_iteratorINS8_10device_ptrIfEEEESF_8abs_diffIfEEEPffNS8_7maximumIfEEEE10hipError_tPvRmT1_T2_T3_mT4_P12ihipStream_tbEUlT_E0_NS1_11comp_targetILNS1_3genE0ELNS1_11target_archE4294967295ELNS1_3gpuE0ELNS1_3repE0EEENS1_30default_config_static_selectorELNS0_4arch9wavefront6targetE1EEEvSP_,comdat
.Lfunc_end19:
	.size	_ZN7rocprim17ROCPRIM_400000_NS6detail17trampoline_kernelINS0_14default_configENS1_22reduce_config_selectorIfEEZNS1_11reduce_implILb1ES3_N6thrust23THRUST_200600_302600_NS11hip_rocprim35transform_pair_of_input_iterators_tIfNS8_6detail15normal_iteratorINS8_10device_ptrIfEEEESF_8abs_diffIfEEEPffNS8_7maximumIfEEEE10hipError_tPvRmT1_T2_T3_mT4_P12ihipStream_tbEUlT_E0_NS1_11comp_targetILNS1_3genE0ELNS1_11target_archE4294967295ELNS1_3gpuE0ELNS1_3repE0EEENS1_30default_config_static_selectorELNS0_4arch9wavefront6targetE1EEEvSP_, .Lfunc_end19-_ZN7rocprim17ROCPRIM_400000_NS6detail17trampoline_kernelINS0_14default_configENS1_22reduce_config_selectorIfEEZNS1_11reduce_implILb1ES3_N6thrust23THRUST_200600_302600_NS11hip_rocprim35transform_pair_of_input_iterators_tIfNS8_6detail15normal_iteratorINS8_10device_ptrIfEEEESF_8abs_diffIfEEEPffNS8_7maximumIfEEEE10hipError_tPvRmT1_T2_T3_mT4_P12ihipStream_tbEUlT_E0_NS1_11comp_targetILNS1_3genE0ELNS1_11target_archE4294967295ELNS1_3gpuE0ELNS1_3repE0EEENS1_30default_config_static_selectorELNS0_4arch9wavefront6targetE1EEEvSP_
                                        ; -- End function
	.section	.AMDGPU.csdata,"",@progbits
; Kernel info:
; codeLenInByte = 0
; NumSgprs: 4
; NumVgprs: 0
; NumAgprs: 0
; TotalNumVgprs: 0
; ScratchSize: 0
; MemoryBound: 0
; FloatMode: 240
; IeeeMode: 1
; LDSByteSize: 0 bytes/workgroup (compile time only)
; SGPRBlocks: 0
; VGPRBlocks: 0
; NumSGPRsForWavesPerEU: 4
; NumVGPRsForWavesPerEU: 1
; AccumOffset: 4
; Occupancy: 8
; WaveLimiterHint : 0
; COMPUTE_PGM_RSRC2:SCRATCH_EN: 0
; COMPUTE_PGM_RSRC2:USER_SGPR: 6
; COMPUTE_PGM_RSRC2:TRAP_HANDLER: 0
; COMPUTE_PGM_RSRC2:TGID_X_EN: 1
; COMPUTE_PGM_RSRC2:TGID_Y_EN: 0
; COMPUTE_PGM_RSRC2:TGID_Z_EN: 0
; COMPUTE_PGM_RSRC2:TIDIG_COMP_CNT: 0
; COMPUTE_PGM_RSRC3_GFX90A:ACCUM_OFFSET: 0
; COMPUTE_PGM_RSRC3_GFX90A:TG_SPLIT: 0
	.section	.text._ZN7rocprim17ROCPRIM_400000_NS6detail17trampoline_kernelINS0_14default_configENS1_22reduce_config_selectorIfEEZNS1_11reduce_implILb1ES3_N6thrust23THRUST_200600_302600_NS11hip_rocprim35transform_pair_of_input_iterators_tIfNS8_6detail15normal_iteratorINS8_10device_ptrIfEEEESF_8abs_diffIfEEEPffNS8_7maximumIfEEEE10hipError_tPvRmT1_T2_T3_mT4_P12ihipStream_tbEUlT_E0_NS1_11comp_targetILNS1_3genE5ELNS1_11target_archE942ELNS1_3gpuE9ELNS1_3repE0EEENS1_30default_config_static_selectorELNS0_4arch9wavefront6targetE1EEEvSP_,"axG",@progbits,_ZN7rocprim17ROCPRIM_400000_NS6detail17trampoline_kernelINS0_14default_configENS1_22reduce_config_selectorIfEEZNS1_11reduce_implILb1ES3_N6thrust23THRUST_200600_302600_NS11hip_rocprim35transform_pair_of_input_iterators_tIfNS8_6detail15normal_iteratorINS8_10device_ptrIfEEEESF_8abs_diffIfEEEPffNS8_7maximumIfEEEE10hipError_tPvRmT1_T2_T3_mT4_P12ihipStream_tbEUlT_E0_NS1_11comp_targetILNS1_3genE5ELNS1_11target_archE942ELNS1_3gpuE9ELNS1_3repE0EEENS1_30default_config_static_selectorELNS0_4arch9wavefront6targetE1EEEvSP_,comdat
	.protected	_ZN7rocprim17ROCPRIM_400000_NS6detail17trampoline_kernelINS0_14default_configENS1_22reduce_config_selectorIfEEZNS1_11reduce_implILb1ES3_N6thrust23THRUST_200600_302600_NS11hip_rocprim35transform_pair_of_input_iterators_tIfNS8_6detail15normal_iteratorINS8_10device_ptrIfEEEESF_8abs_diffIfEEEPffNS8_7maximumIfEEEE10hipError_tPvRmT1_T2_T3_mT4_P12ihipStream_tbEUlT_E0_NS1_11comp_targetILNS1_3genE5ELNS1_11target_archE942ELNS1_3gpuE9ELNS1_3repE0EEENS1_30default_config_static_selectorELNS0_4arch9wavefront6targetE1EEEvSP_ ; -- Begin function _ZN7rocprim17ROCPRIM_400000_NS6detail17trampoline_kernelINS0_14default_configENS1_22reduce_config_selectorIfEEZNS1_11reduce_implILb1ES3_N6thrust23THRUST_200600_302600_NS11hip_rocprim35transform_pair_of_input_iterators_tIfNS8_6detail15normal_iteratorINS8_10device_ptrIfEEEESF_8abs_diffIfEEEPffNS8_7maximumIfEEEE10hipError_tPvRmT1_T2_T3_mT4_P12ihipStream_tbEUlT_E0_NS1_11comp_targetILNS1_3genE5ELNS1_11target_archE942ELNS1_3gpuE9ELNS1_3repE0EEENS1_30default_config_static_selectorELNS0_4arch9wavefront6targetE1EEEvSP_
	.globl	_ZN7rocprim17ROCPRIM_400000_NS6detail17trampoline_kernelINS0_14default_configENS1_22reduce_config_selectorIfEEZNS1_11reduce_implILb1ES3_N6thrust23THRUST_200600_302600_NS11hip_rocprim35transform_pair_of_input_iterators_tIfNS8_6detail15normal_iteratorINS8_10device_ptrIfEEEESF_8abs_diffIfEEEPffNS8_7maximumIfEEEE10hipError_tPvRmT1_T2_T3_mT4_P12ihipStream_tbEUlT_E0_NS1_11comp_targetILNS1_3genE5ELNS1_11target_archE942ELNS1_3gpuE9ELNS1_3repE0EEENS1_30default_config_static_selectorELNS0_4arch9wavefront6targetE1EEEvSP_
	.p2align	8
	.type	_ZN7rocprim17ROCPRIM_400000_NS6detail17trampoline_kernelINS0_14default_configENS1_22reduce_config_selectorIfEEZNS1_11reduce_implILb1ES3_N6thrust23THRUST_200600_302600_NS11hip_rocprim35transform_pair_of_input_iterators_tIfNS8_6detail15normal_iteratorINS8_10device_ptrIfEEEESF_8abs_diffIfEEEPffNS8_7maximumIfEEEE10hipError_tPvRmT1_T2_T3_mT4_P12ihipStream_tbEUlT_E0_NS1_11comp_targetILNS1_3genE5ELNS1_11target_archE942ELNS1_3gpuE9ELNS1_3repE0EEENS1_30default_config_static_selectorELNS0_4arch9wavefront6targetE1EEEvSP_,@function
_ZN7rocprim17ROCPRIM_400000_NS6detail17trampoline_kernelINS0_14default_configENS1_22reduce_config_selectorIfEEZNS1_11reduce_implILb1ES3_N6thrust23THRUST_200600_302600_NS11hip_rocprim35transform_pair_of_input_iterators_tIfNS8_6detail15normal_iteratorINS8_10device_ptrIfEEEESF_8abs_diffIfEEEPffNS8_7maximumIfEEEE10hipError_tPvRmT1_T2_T3_mT4_P12ihipStream_tbEUlT_E0_NS1_11comp_targetILNS1_3genE5ELNS1_11target_archE942ELNS1_3gpuE9ELNS1_3repE0EEENS1_30default_config_static_selectorELNS0_4arch9wavefront6targetE1EEEvSP_: ; @_ZN7rocprim17ROCPRIM_400000_NS6detail17trampoline_kernelINS0_14default_configENS1_22reduce_config_selectorIfEEZNS1_11reduce_implILb1ES3_N6thrust23THRUST_200600_302600_NS11hip_rocprim35transform_pair_of_input_iterators_tIfNS8_6detail15normal_iteratorINS8_10device_ptrIfEEEESF_8abs_diffIfEEEPffNS8_7maximumIfEEEE10hipError_tPvRmT1_T2_T3_mT4_P12ihipStream_tbEUlT_E0_NS1_11comp_targetILNS1_3genE5ELNS1_11target_archE942ELNS1_3gpuE9ELNS1_3repE0EEENS1_30default_config_static_selectorELNS0_4arch9wavefront6targetE1EEEvSP_
; %bb.0:
	.section	.rodata,"a",@progbits
	.p2align	6, 0x0
	.amdhsa_kernel _ZN7rocprim17ROCPRIM_400000_NS6detail17trampoline_kernelINS0_14default_configENS1_22reduce_config_selectorIfEEZNS1_11reduce_implILb1ES3_N6thrust23THRUST_200600_302600_NS11hip_rocprim35transform_pair_of_input_iterators_tIfNS8_6detail15normal_iteratorINS8_10device_ptrIfEEEESF_8abs_diffIfEEEPffNS8_7maximumIfEEEE10hipError_tPvRmT1_T2_T3_mT4_P12ihipStream_tbEUlT_E0_NS1_11comp_targetILNS1_3genE5ELNS1_11target_archE942ELNS1_3gpuE9ELNS1_3repE0EEENS1_30default_config_static_selectorELNS0_4arch9wavefront6targetE1EEEvSP_
		.amdhsa_group_segment_fixed_size 0
		.amdhsa_private_segment_fixed_size 0
		.amdhsa_kernarg_size 72
		.amdhsa_user_sgpr_count 6
		.amdhsa_user_sgpr_private_segment_buffer 1
		.amdhsa_user_sgpr_dispatch_ptr 0
		.amdhsa_user_sgpr_queue_ptr 0
		.amdhsa_user_sgpr_kernarg_segment_ptr 1
		.amdhsa_user_sgpr_dispatch_id 0
		.amdhsa_user_sgpr_flat_scratch_init 0
		.amdhsa_user_sgpr_kernarg_preload_length 0
		.amdhsa_user_sgpr_kernarg_preload_offset 0
		.amdhsa_user_sgpr_private_segment_size 0
		.amdhsa_uses_dynamic_stack 0
		.amdhsa_system_sgpr_private_segment_wavefront_offset 0
		.amdhsa_system_sgpr_workgroup_id_x 1
		.amdhsa_system_sgpr_workgroup_id_y 0
		.amdhsa_system_sgpr_workgroup_id_z 0
		.amdhsa_system_sgpr_workgroup_info 0
		.amdhsa_system_vgpr_workitem_id 0
		.amdhsa_next_free_vgpr 1
		.amdhsa_next_free_sgpr 0
		.amdhsa_accum_offset 4
		.amdhsa_reserve_vcc 0
		.amdhsa_reserve_flat_scratch 0
		.amdhsa_float_round_mode_32 0
		.amdhsa_float_round_mode_16_64 0
		.amdhsa_float_denorm_mode_32 3
		.amdhsa_float_denorm_mode_16_64 3
		.amdhsa_dx10_clamp 1
		.amdhsa_ieee_mode 1
		.amdhsa_fp16_overflow 0
		.amdhsa_tg_split 0
		.amdhsa_exception_fp_ieee_invalid_op 0
		.amdhsa_exception_fp_denorm_src 0
		.amdhsa_exception_fp_ieee_div_zero 0
		.amdhsa_exception_fp_ieee_overflow 0
		.amdhsa_exception_fp_ieee_underflow 0
		.amdhsa_exception_fp_ieee_inexact 0
		.amdhsa_exception_int_div_zero 0
	.end_amdhsa_kernel
	.section	.text._ZN7rocprim17ROCPRIM_400000_NS6detail17trampoline_kernelINS0_14default_configENS1_22reduce_config_selectorIfEEZNS1_11reduce_implILb1ES3_N6thrust23THRUST_200600_302600_NS11hip_rocprim35transform_pair_of_input_iterators_tIfNS8_6detail15normal_iteratorINS8_10device_ptrIfEEEESF_8abs_diffIfEEEPffNS8_7maximumIfEEEE10hipError_tPvRmT1_T2_T3_mT4_P12ihipStream_tbEUlT_E0_NS1_11comp_targetILNS1_3genE5ELNS1_11target_archE942ELNS1_3gpuE9ELNS1_3repE0EEENS1_30default_config_static_selectorELNS0_4arch9wavefront6targetE1EEEvSP_,"axG",@progbits,_ZN7rocprim17ROCPRIM_400000_NS6detail17trampoline_kernelINS0_14default_configENS1_22reduce_config_selectorIfEEZNS1_11reduce_implILb1ES3_N6thrust23THRUST_200600_302600_NS11hip_rocprim35transform_pair_of_input_iterators_tIfNS8_6detail15normal_iteratorINS8_10device_ptrIfEEEESF_8abs_diffIfEEEPffNS8_7maximumIfEEEE10hipError_tPvRmT1_T2_T3_mT4_P12ihipStream_tbEUlT_E0_NS1_11comp_targetILNS1_3genE5ELNS1_11target_archE942ELNS1_3gpuE9ELNS1_3repE0EEENS1_30default_config_static_selectorELNS0_4arch9wavefront6targetE1EEEvSP_,comdat
.Lfunc_end20:
	.size	_ZN7rocprim17ROCPRIM_400000_NS6detail17trampoline_kernelINS0_14default_configENS1_22reduce_config_selectorIfEEZNS1_11reduce_implILb1ES3_N6thrust23THRUST_200600_302600_NS11hip_rocprim35transform_pair_of_input_iterators_tIfNS8_6detail15normal_iteratorINS8_10device_ptrIfEEEESF_8abs_diffIfEEEPffNS8_7maximumIfEEEE10hipError_tPvRmT1_T2_T3_mT4_P12ihipStream_tbEUlT_E0_NS1_11comp_targetILNS1_3genE5ELNS1_11target_archE942ELNS1_3gpuE9ELNS1_3repE0EEENS1_30default_config_static_selectorELNS0_4arch9wavefront6targetE1EEEvSP_, .Lfunc_end20-_ZN7rocprim17ROCPRIM_400000_NS6detail17trampoline_kernelINS0_14default_configENS1_22reduce_config_selectorIfEEZNS1_11reduce_implILb1ES3_N6thrust23THRUST_200600_302600_NS11hip_rocprim35transform_pair_of_input_iterators_tIfNS8_6detail15normal_iteratorINS8_10device_ptrIfEEEESF_8abs_diffIfEEEPffNS8_7maximumIfEEEE10hipError_tPvRmT1_T2_T3_mT4_P12ihipStream_tbEUlT_E0_NS1_11comp_targetILNS1_3genE5ELNS1_11target_archE942ELNS1_3gpuE9ELNS1_3repE0EEENS1_30default_config_static_selectorELNS0_4arch9wavefront6targetE1EEEvSP_
                                        ; -- End function
	.section	.AMDGPU.csdata,"",@progbits
; Kernel info:
; codeLenInByte = 0
; NumSgprs: 4
; NumVgprs: 0
; NumAgprs: 0
; TotalNumVgprs: 0
; ScratchSize: 0
; MemoryBound: 0
; FloatMode: 240
; IeeeMode: 1
; LDSByteSize: 0 bytes/workgroup (compile time only)
; SGPRBlocks: 0
; VGPRBlocks: 0
; NumSGPRsForWavesPerEU: 4
; NumVGPRsForWavesPerEU: 1
; AccumOffset: 4
; Occupancy: 8
; WaveLimiterHint : 0
; COMPUTE_PGM_RSRC2:SCRATCH_EN: 0
; COMPUTE_PGM_RSRC2:USER_SGPR: 6
; COMPUTE_PGM_RSRC2:TRAP_HANDLER: 0
; COMPUTE_PGM_RSRC2:TGID_X_EN: 1
; COMPUTE_PGM_RSRC2:TGID_Y_EN: 0
; COMPUTE_PGM_RSRC2:TGID_Z_EN: 0
; COMPUTE_PGM_RSRC2:TIDIG_COMP_CNT: 0
; COMPUTE_PGM_RSRC3_GFX90A:ACCUM_OFFSET: 0
; COMPUTE_PGM_RSRC3_GFX90A:TG_SPLIT: 0
	.section	.text._ZN7rocprim17ROCPRIM_400000_NS6detail17trampoline_kernelINS0_14default_configENS1_22reduce_config_selectorIfEEZNS1_11reduce_implILb1ES3_N6thrust23THRUST_200600_302600_NS11hip_rocprim35transform_pair_of_input_iterators_tIfNS8_6detail15normal_iteratorINS8_10device_ptrIfEEEESF_8abs_diffIfEEEPffNS8_7maximumIfEEEE10hipError_tPvRmT1_T2_T3_mT4_P12ihipStream_tbEUlT_E0_NS1_11comp_targetILNS1_3genE4ELNS1_11target_archE910ELNS1_3gpuE8ELNS1_3repE0EEENS1_30default_config_static_selectorELNS0_4arch9wavefront6targetE1EEEvSP_,"axG",@progbits,_ZN7rocprim17ROCPRIM_400000_NS6detail17trampoline_kernelINS0_14default_configENS1_22reduce_config_selectorIfEEZNS1_11reduce_implILb1ES3_N6thrust23THRUST_200600_302600_NS11hip_rocprim35transform_pair_of_input_iterators_tIfNS8_6detail15normal_iteratorINS8_10device_ptrIfEEEESF_8abs_diffIfEEEPffNS8_7maximumIfEEEE10hipError_tPvRmT1_T2_T3_mT4_P12ihipStream_tbEUlT_E0_NS1_11comp_targetILNS1_3genE4ELNS1_11target_archE910ELNS1_3gpuE8ELNS1_3repE0EEENS1_30default_config_static_selectorELNS0_4arch9wavefront6targetE1EEEvSP_,comdat
	.protected	_ZN7rocprim17ROCPRIM_400000_NS6detail17trampoline_kernelINS0_14default_configENS1_22reduce_config_selectorIfEEZNS1_11reduce_implILb1ES3_N6thrust23THRUST_200600_302600_NS11hip_rocprim35transform_pair_of_input_iterators_tIfNS8_6detail15normal_iteratorINS8_10device_ptrIfEEEESF_8abs_diffIfEEEPffNS8_7maximumIfEEEE10hipError_tPvRmT1_T2_T3_mT4_P12ihipStream_tbEUlT_E0_NS1_11comp_targetILNS1_3genE4ELNS1_11target_archE910ELNS1_3gpuE8ELNS1_3repE0EEENS1_30default_config_static_selectorELNS0_4arch9wavefront6targetE1EEEvSP_ ; -- Begin function _ZN7rocprim17ROCPRIM_400000_NS6detail17trampoline_kernelINS0_14default_configENS1_22reduce_config_selectorIfEEZNS1_11reduce_implILb1ES3_N6thrust23THRUST_200600_302600_NS11hip_rocprim35transform_pair_of_input_iterators_tIfNS8_6detail15normal_iteratorINS8_10device_ptrIfEEEESF_8abs_diffIfEEEPffNS8_7maximumIfEEEE10hipError_tPvRmT1_T2_T3_mT4_P12ihipStream_tbEUlT_E0_NS1_11comp_targetILNS1_3genE4ELNS1_11target_archE910ELNS1_3gpuE8ELNS1_3repE0EEENS1_30default_config_static_selectorELNS0_4arch9wavefront6targetE1EEEvSP_
	.globl	_ZN7rocprim17ROCPRIM_400000_NS6detail17trampoline_kernelINS0_14default_configENS1_22reduce_config_selectorIfEEZNS1_11reduce_implILb1ES3_N6thrust23THRUST_200600_302600_NS11hip_rocprim35transform_pair_of_input_iterators_tIfNS8_6detail15normal_iteratorINS8_10device_ptrIfEEEESF_8abs_diffIfEEEPffNS8_7maximumIfEEEE10hipError_tPvRmT1_T2_T3_mT4_P12ihipStream_tbEUlT_E0_NS1_11comp_targetILNS1_3genE4ELNS1_11target_archE910ELNS1_3gpuE8ELNS1_3repE0EEENS1_30default_config_static_selectorELNS0_4arch9wavefront6targetE1EEEvSP_
	.p2align	8
	.type	_ZN7rocprim17ROCPRIM_400000_NS6detail17trampoline_kernelINS0_14default_configENS1_22reduce_config_selectorIfEEZNS1_11reduce_implILb1ES3_N6thrust23THRUST_200600_302600_NS11hip_rocprim35transform_pair_of_input_iterators_tIfNS8_6detail15normal_iteratorINS8_10device_ptrIfEEEESF_8abs_diffIfEEEPffNS8_7maximumIfEEEE10hipError_tPvRmT1_T2_T3_mT4_P12ihipStream_tbEUlT_E0_NS1_11comp_targetILNS1_3genE4ELNS1_11target_archE910ELNS1_3gpuE8ELNS1_3repE0EEENS1_30default_config_static_selectorELNS0_4arch9wavefront6targetE1EEEvSP_,@function
_ZN7rocprim17ROCPRIM_400000_NS6detail17trampoline_kernelINS0_14default_configENS1_22reduce_config_selectorIfEEZNS1_11reduce_implILb1ES3_N6thrust23THRUST_200600_302600_NS11hip_rocprim35transform_pair_of_input_iterators_tIfNS8_6detail15normal_iteratorINS8_10device_ptrIfEEEESF_8abs_diffIfEEEPffNS8_7maximumIfEEEE10hipError_tPvRmT1_T2_T3_mT4_P12ihipStream_tbEUlT_E0_NS1_11comp_targetILNS1_3genE4ELNS1_11target_archE910ELNS1_3gpuE8ELNS1_3repE0EEENS1_30default_config_static_selectorELNS0_4arch9wavefront6targetE1EEEvSP_: ; @_ZN7rocprim17ROCPRIM_400000_NS6detail17trampoline_kernelINS0_14default_configENS1_22reduce_config_selectorIfEEZNS1_11reduce_implILb1ES3_N6thrust23THRUST_200600_302600_NS11hip_rocprim35transform_pair_of_input_iterators_tIfNS8_6detail15normal_iteratorINS8_10device_ptrIfEEEESF_8abs_diffIfEEEPffNS8_7maximumIfEEEE10hipError_tPvRmT1_T2_T3_mT4_P12ihipStream_tbEUlT_E0_NS1_11comp_targetILNS1_3genE4ELNS1_11target_archE910ELNS1_3gpuE8ELNS1_3repE0EEENS1_30default_config_static_selectorELNS0_4arch9wavefront6targetE1EEEvSP_
; %bb.0:
	s_load_dwordx8 s[16:23], s[4:5], 0x18
	s_load_dwordx4 s[0:3], s[4:5], 0x0
	s_load_dwordx2 s[24:25], s[4:5], 0x38
	v_lshlrev_b32_e32 v10, 2, v0
	v_mbcnt_lo_u32_b32 v1, -1, 0
	s_waitcnt lgkmcnt(0)
	s_lshl_b64 s[8:9], s[16:17], 2
	s_add_u32 s10, s0, s8
	s_addc_u32 s11, s1, s9
	s_add_u32 s12, s2, s8
	s_addc_u32 s13, s3, s9
	s_lshl_b32 s0, s6, 10
	s_mov_b32 s1, 0
	s_lshr_b64 s[2:3], s[18:19], 10
	s_lshl_b64 s[8:9], s[0:1], 2
	s_add_u32 s29, s10, s8
	s_addc_u32 s30, s11, s9
	s_add_u32 s27, s12, s8
	s_mov_b32 s7, s1
	s_addc_u32 s28, s13, s9
	s_cmp_lg_u64 s[2:3], s[6:7]
	s_cbranch_scc0 .LBB21_6
; %bb.1:
	v_mov_b32_e32 v3, s30
	v_add_co_u32_e32 v2, vcc, s29, v10
	v_addc_co_u32_e32 v3, vcc, 0, v3, vcc
	v_mov_b32_e32 v5, s28
	v_add_co_u32_e32 v4, vcc, s27, v10
	v_addc_co_u32_e32 v5, vcc, 0, v5, vcc
	flat_load_dword v6, v[2:3]
	flat_load_dword v7, v[2:3] offset:512
	flat_load_dword v11, v[2:3] offset:1024
	;; [unrolled: 1-line block ×7, first 2 shown]
	flat_load_dword v8, v[4:5]
	flat_load_dword v9, v[4:5] offset:512
	flat_load_dword v17, v[4:5] offset:1024
	;; [unrolled: 1-line block ×6, first 2 shown]
                                        ; kill: killed $vgpr2 killed $vgpr3
	flat_load_dword v2, v[4:5] offset:3584
	v_mbcnt_hi_u32_b32 v3, -1, v1
	v_lshlrev_b32_e32 v4, 2, v3
	s_waitcnt vmcnt(0) lgkmcnt(0)
	v_pk_add_f32 v[6:7], v[8:9], v[6:7] neg_lo:[0,1] neg_hi:[0,1]
	v_cmp_lt_f32_e64 vcc, |v6|, |v7|
	v_sub_f32_e32 v5, v17, v11
	v_cndmask_b32_e32 v6, v6, v7, vcc
	v_cmp_lt_f32_e64 vcc, |v6|, |v5|
	v_sub_f32_e32 v8, v18, v12
	v_cndmask_b32_e32 v5, v6, v5, vcc
	;; [unrolled: 3-line block ×6, first 2 shown]
	v_cmp_lt_f32_e64 s[2:3], |v5|, |v2|
	v_cndmask_b32_e64 v2, |v5|, |v2|, s[2:3]
	s_nop 1
	v_mov_b32_dpp v5, v2 quad_perm:[1,0,3,2] row_mask:0xf bank_mask:0xf bound_ctrl:1
	v_cmp_gt_f32_e32 vcc, v2, v5
	v_cndmask_b32_e32 v2, v5, v2, vcc
	s_nop 1
	v_mov_b32_dpp v5, v2 quad_perm:[2,3,0,1] row_mask:0xf bank_mask:0xf bound_ctrl:1
	v_cmp_gt_f32_e32 vcc, v2, v5
	v_cndmask_b32_e32 v2, v5, v2, vcc
	s_nop 1
	v_mov_b32_dpp v5, v2 row_ror:4 row_mask:0xf bank_mask:0xf bound_ctrl:1
	v_cmp_gt_f32_e32 vcc, v2, v5
	v_cndmask_b32_e32 v2, v5, v2, vcc
	s_nop 1
	v_mov_b32_dpp v5, v2 row_ror:8 row_mask:0xf bank_mask:0xf bound_ctrl:1
	v_cmp_gt_f32_e32 vcc, v2, v5
	v_cndmask_b32_e32 v2, v5, v2, vcc
	s_nop 1
	v_mov_b32_dpp v5, v2 row_bcast:15 row_mask:0xf bank_mask:0xf bound_ctrl:1
	v_cmp_gt_f32_e32 vcc, v2, v5
	v_cndmask_b32_e32 v2, v5, v2, vcc
	s_nop 1
	v_mov_b32_dpp v5, v2 row_bcast:31 row_mask:0xf bank_mask:0xf bound_ctrl:1
	v_cmp_gt_f32_e32 vcc, v2, v5
	v_cndmask_b32_e32 v2, v5, v2, vcc
	v_or_b32_e32 v5, 0xfc, v4
	ds_bpermute_b32 v2, v5, v2
	v_cmp_eq_u32_e32 vcc, 0, v3
	s_and_saveexec_b64 s[2:3], vcc
	s_cbranch_execz .LBB21_3
; %bb.2:
	v_lshrrev_b32_e32 v5, 4, v0
	v_and_b32_e32 v5, 4, v5
	s_waitcnt lgkmcnt(0)
	ds_write_b32 v5, v2
.LBB21_3:
	s_or_b64 exec, exec, s[2:3]
	v_cmp_gt_u32_e32 vcc, 64, v0
	s_waitcnt lgkmcnt(0)
	s_barrier
	s_and_saveexec_b64 s[2:3], vcc
	s_cbranch_execz .LBB21_5
; %bb.4:
	v_and_b32_e32 v2, 1, v3
	v_lshlrev_b32_e32 v2, 2, v2
	ds_read_b32 v2, v2
	v_or_b32_e32 v3, 4, v4
	s_waitcnt lgkmcnt(0)
	ds_bpermute_b32 v3, v3, v2
	s_waitcnt lgkmcnt(0)
	v_cmp_lt_f32_e32 vcc, v2, v3
	v_cndmask_b32_e32 v2, v2, v3, vcc
.LBB21_5:
	s_or_b64 exec, exec, s[2:3]
	s_load_dword s26, s[4:5], 0x40
	s_branch .LBB21_28
.LBB21_6:
                                        ; implicit-def: $vgpr2
	s_load_dword s26, s[4:5], 0x40
	s_cbranch_execz .LBB21_28
; %bb.7:
	s_sub_i32 s31, s18, s0
	v_cmp_gt_u32_e32 vcc, s31, v0
                                        ; implicit-def: $vgpr2_vgpr3_vgpr4_vgpr5_vgpr6_vgpr7_vgpr8_vgpr9
	s_and_saveexec_b64 s[0:1], vcc
	s_cbranch_execz .LBB21_9
; %bb.8:
	v_mov_b32_e32 v3, s30
	v_add_co_u32_e32 v2, vcc, s29, v10
	v_addc_co_u32_e32 v3, vcc, 0, v3, vcc
	flat_load_dword v4, v[2:3]
	v_mov_b32_e32 v3, s28
	v_add_co_u32_e32 v2, vcc, s27, v10
	v_addc_co_u32_e32 v3, vcc, 0, v3, vcc
	flat_load_dword v2, v[2:3]
	s_waitcnt vmcnt(0) lgkmcnt(0)
	v_sub_f32_e32 v2, v2, v4
	v_and_b32_e32 v2, 0x7fffffff, v2
.LBB21_9:
	s_or_b64 exec, exec, s[0:1]
	v_or_b32_e32 v11, 0x80, v0
	v_cmp_gt_u32_e32 vcc, s31, v11
	s_and_saveexec_b64 s[2:3], vcc
	s_cbranch_execz .LBB21_11
; %bb.10:
	v_mov_b32_e32 v3, s30
	v_add_co_u32_e64 v12, s[0:1], s29, v10
	v_addc_co_u32_e64 v13, s[0:1], 0, v3, s[0:1]
	flat_load_dword v3, v[12:13] offset:512
	v_mov_b32_e32 v11, s28
	v_add_co_u32_e64 v12, s[0:1], s27, v10
	v_addc_co_u32_e64 v13, s[0:1], 0, v11, s[0:1]
	flat_load_dword v11, v[12:13] offset:512
	s_waitcnt vmcnt(0) lgkmcnt(0)
	v_sub_f32_e32 v3, v11, v3
	v_and_b32_e32 v3, 0x7fffffff, v3
.LBB21_11:
	s_or_b64 exec, exec, s[2:3]
	v_or_b32_e32 v11, 0x100, v0
	v_cmp_gt_u32_e64 s[0:1], s31, v11
	s_and_saveexec_b64 s[4:5], s[0:1]
	s_cbranch_execz .LBB21_13
; %bb.12:
	v_mov_b32_e32 v4, s30
	v_add_co_u32_e64 v12, s[2:3], s29, v10
	v_addc_co_u32_e64 v13, s[2:3], 0, v4, s[2:3]
	flat_load_dword v4, v[12:13] offset:1024
	v_mov_b32_e32 v11, s28
	v_add_co_u32_e64 v12, s[2:3], s27, v10
	v_addc_co_u32_e64 v13, s[2:3], 0, v11, s[2:3]
	flat_load_dword v11, v[12:13] offset:1024
	s_waitcnt vmcnt(0) lgkmcnt(0)
	v_sub_f32_e32 v4, v11, v4
	v_and_b32_e32 v4, 0x7fffffff, v4
.LBB21_13:
	s_or_b64 exec, exec, s[4:5]
	v_or_b32_e32 v11, 0x180, v0
	v_cmp_gt_u32_e64 s[2:3], s31, v11
	s_and_saveexec_b64 s[8:9], s[2:3]
	;; [unrolled: 18-line block ×6, first 2 shown]
	s_cbranch_execz .LBB21_23
; %bb.22:
	v_mov_b32_e32 v9, s30
	v_add_co_u32_e64 v12, s[14:15], s29, v10
	v_addc_co_u32_e64 v13, s[14:15], 0, v9, s[14:15]
	v_mov_b32_e32 v11, s28
	v_add_co_u32_e64 v10, s[14:15], s27, v10
	v_addc_co_u32_e64 v11, s[14:15], 0, v11, s[14:15]
	flat_load_dword v9, v[12:13] offset:3584
	s_nop 0
	flat_load_dword v10, v[10:11] offset:3584
	s_waitcnt vmcnt(0) lgkmcnt(0)
	v_sub_f32_e32 v9, v10, v9
	v_and_b32_e32 v9, 0x7fffffff, v9
.LBB21_23:
	s_or_b64 exec, exec, s[16:17]
	v_cmp_lt_f32_e64 s[14:15], v2, v3
	s_and_b64 vcc, vcc, s[14:15]
	v_cndmask_b32_e32 v2, v2, v3, vcc
	v_cmp_lt_f32_e32 vcc, v2, v4
	s_and_b64 vcc, s[0:1], vcc
	v_cndmask_b32_e32 v2, v2, v4, vcc
	v_cmp_lt_f32_e32 vcc, v2, v5
	s_and_b64 vcc, s[2:3], vcc
	;; [unrolled: 3-line block ×5, first 2 shown]
	v_cndmask_b32_e32 v2, v2, v8, vcc
	v_cmp_lt_f32_e32 vcc, v2, v9
	v_mbcnt_hi_u32_b32 v1, -1, v1
	s_and_b64 vcc, s[12:13], vcc
	v_and_b32_e32 v3, 63, v1
	v_cndmask_b32_e32 v2, v2, v9, vcc
	v_cmp_ne_u32_e32 vcc, 63, v3
	v_addc_co_u32_e32 v4, vcc, 0, v1, vcc
	v_lshlrev_b32_e32 v4, 2, v4
	ds_bpermute_b32 v4, v4, v2
	s_min_u32 s4, s31, 0x80
	v_and_b32_e32 v5, 64, v0
	v_sub_u32_e64 v5, s4, v5 clamp
	v_add_u32_e32 v6, 1, v3
	s_waitcnt lgkmcnt(0)
	v_cmp_lt_f32_e32 vcc, v2, v4
	v_cmp_gt_u32_e64 s[0:1], 62, v3
	v_cndmask_b32_e32 v4, v2, v4, vcc
	v_cmp_lt_u32_e32 vcc, v6, v5
	v_cndmask_b32_e64 v6, 0, 1, s[0:1]
	v_lshlrev_b32_e32 v6, 1, v6
	v_cndmask_b32_e32 v4, v2, v4, vcc
	v_add_lshl_u32 v6, v6, v1, 2
	ds_bpermute_b32 v6, v6, v4
	v_add_u32_e32 v7, 2, v3
	s_waitcnt lgkmcnt(0)
	v_cmp_lt_f32_e64 s[0:1], v4, v6
	v_cndmask_b32_e64 v6, v4, v6, s[0:1]
	v_cmp_lt_u32_e64 s[0:1], v7, v5
	v_cndmask_b32_e64 v4, v4, v6, s[0:1]
	v_cmp_gt_u32_e64 s[0:1], 60, v3
	v_cndmask_b32_e64 v6, 0, 1, s[0:1]
	v_lshlrev_b32_e32 v6, 2, v6
	v_add_lshl_u32 v6, v6, v1, 2
	ds_bpermute_b32 v6, v6, v4
	v_add_u32_e32 v7, 4, v3
	s_waitcnt lgkmcnt(0)
	v_cmp_lt_f32_e64 s[0:1], v4, v6
	v_cndmask_b32_e64 v6, v4, v6, s[0:1]
	v_cmp_lt_u32_e64 s[0:1], v7, v5
	v_cndmask_b32_e64 v4, v4, v6, s[0:1]
	v_cmp_gt_u32_e64 s[0:1], 56, v3
	v_cndmask_b32_e64 v6, 0, 1, s[0:1]
	v_lshlrev_b32_e32 v6, 3, v6
	v_add_lshl_u32 v6, v6, v1, 2
	ds_bpermute_b32 v6, v6, v4
	v_add_u32_e32 v7, 8, v3
	s_waitcnt lgkmcnt(0)
	v_cmp_lt_f32_e64 s[0:1], v4, v6
	v_cndmask_b32_e64 v6, v4, v6, s[0:1]
	v_cmp_lt_u32_e64 s[0:1], v7, v5
	v_cndmask_b32_e64 v4, v4, v6, s[0:1]
	v_cmp_gt_u32_e64 s[0:1], 48, v3
	v_cndmask_b32_e64 v6, 0, 1, s[0:1]
	v_lshlrev_b32_e32 v6, 4, v6
	v_add_lshl_u32 v6, v6, v1, 2
	ds_bpermute_b32 v6, v6, v4
	v_add_u32_e32 v7, 16, v3
	s_waitcnt lgkmcnt(0)
	v_cmp_lt_f32_e64 s[0:1], v4, v6
	v_cndmask_b32_e64 v6, v4, v6, s[0:1]
	v_cmp_lt_u32_e64 s[0:1], v7, v5
	v_cndmask_b32_e64 v4, v4, v6, s[0:1]
	v_cmp_gt_u32_e64 s[0:1], 32, v3
	v_cndmask_b32_e64 v6, 0, 1, s[0:1]
	v_lshlrev_b32_e32 v6, 5, v6
	v_add_lshl_u32 v6, v6, v1, 2
	ds_bpermute_b32 v6, v6, v4
	v_add_u32_e32 v3, 32, v3
	v_cmp_lt_u32_e64 s[0:1], v3, v5
	s_waitcnt lgkmcnt(0)
	v_cmp_lt_f32_e64 s[2:3], v4, v6
	s_and_b64 s[0:1], s[0:1], s[2:3]
	v_cndmask_b32_e64 v3, v4, v6, s[0:1]
	v_cndmask_b32_e32 v2, v2, v3, vcc
	v_cmp_eq_u32_e32 vcc, 0, v1
	s_and_saveexec_b64 s[0:1], vcc
	s_cbranch_execz .LBB21_25
; %bb.24:
	v_lshrrev_b32_e32 v3, 4, v0
	v_and_b32_e32 v3, 4, v3
	ds_write_b32 v3, v2 offset:8
.LBB21_25:
	s_or_b64 exec, exec, s[0:1]
	v_cmp_gt_u32_e32 vcc, 2, v0
	s_waitcnt lgkmcnt(0)
	s_barrier
	s_and_saveexec_b64 s[2:3], vcc
	s_cbranch_execz .LBB21_27
; %bb.26:
	v_lshlrev_b32_e32 v2, 2, v1
	ds_read_b32 v3, v2 offset:8
	v_or_b32_e32 v2, 4, v2
	s_add_i32 s4, s4, 63
	v_and_b32_e32 v1, 1, v1
	s_lshr_b32 s0, s4, 6
	s_waitcnt lgkmcnt(0)
	ds_bpermute_b32 v2, v2, v3
	v_add_u32_e32 v1, 1, v1
	v_cmp_gt_u32_e32 vcc, s0, v1
	s_waitcnt lgkmcnt(0)
	v_cmp_lt_f32_e64 s[0:1], v3, v2
	s_and_b64 vcc, vcc, s[0:1]
	v_cndmask_b32_e32 v2, v3, v2, vcc
.LBB21_27:
	s_or_b64 exec, exec, s[2:3]
.LBB21_28:
	v_cmp_eq_u32_e32 vcc, 0, v0
	s_and_saveexec_b64 s[0:1], vcc
	s_cbranch_execnz .LBB21_30
; %bb.29:
	s_endpgm
.LBB21_30:
	s_mul_i32 s0, s24, s23
	s_mul_hi_u32 s1, s24, s22
	s_add_i32 s0, s1, s0
	s_mul_i32 s1, s25, s22
	s_add_i32 s1, s0, s1
	s_mul_i32 s0, s24, s22
	s_lshl_b64 s[0:1], s[0:1], 2
	s_add_u32 s2, s20, s0
	s_addc_u32 s3, s21, s1
	s_cmp_eq_u64 s[18:19], 0
	s_cselect_b64 vcc, -1, 0
	s_lshl_b64 s[0:1], s[6:7], 2
	s_waitcnt lgkmcnt(0)
	v_mov_b32_e32 v0, s26
	s_add_u32 s0, s2, s0
	v_cndmask_b32_e32 v0, v2, v0, vcc
	s_addc_u32 s1, s3, s1
	v_mov_b32_e32 v1, 0
	global_store_dword v1, v0, s[0:1]
	s_endpgm
	.section	.rodata,"a",@progbits
	.p2align	6, 0x0
	.amdhsa_kernel _ZN7rocprim17ROCPRIM_400000_NS6detail17trampoline_kernelINS0_14default_configENS1_22reduce_config_selectorIfEEZNS1_11reduce_implILb1ES3_N6thrust23THRUST_200600_302600_NS11hip_rocprim35transform_pair_of_input_iterators_tIfNS8_6detail15normal_iteratorINS8_10device_ptrIfEEEESF_8abs_diffIfEEEPffNS8_7maximumIfEEEE10hipError_tPvRmT1_T2_T3_mT4_P12ihipStream_tbEUlT_E0_NS1_11comp_targetILNS1_3genE4ELNS1_11target_archE910ELNS1_3gpuE8ELNS1_3repE0EEENS1_30default_config_static_selectorELNS0_4arch9wavefront6targetE1EEEvSP_
		.amdhsa_group_segment_fixed_size 16
		.amdhsa_private_segment_fixed_size 0
		.amdhsa_kernarg_size 72
		.amdhsa_user_sgpr_count 6
		.amdhsa_user_sgpr_private_segment_buffer 1
		.amdhsa_user_sgpr_dispatch_ptr 0
		.amdhsa_user_sgpr_queue_ptr 0
		.amdhsa_user_sgpr_kernarg_segment_ptr 1
		.amdhsa_user_sgpr_dispatch_id 0
		.amdhsa_user_sgpr_flat_scratch_init 0
		.amdhsa_user_sgpr_kernarg_preload_length 0
		.amdhsa_user_sgpr_kernarg_preload_offset 0
		.amdhsa_user_sgpr_private_segment_size 0
		.amdhsa_uses_dynamic_stack 0
		.amdhsa_system_sgpr_private_segment_wavefront_offset 0
		.amdhsa_system_sgpr_workgroup_id_x 1
		.amdhsa_system_sgpr_workgroup_id_y 0
		.amdhsa_system_sgpr_workgroup_id_z 0
		.amdhsa_system_sgpr_workgroup_info 0
		.amdhsa_system_vgpr_workitem_id 0
		.amdhsa_next_free_vgpr 22
		.amdhsa_next_free_sgpr 32
		.amdhsa_accum_offset 24
		.amdhsa_reserve_vcc 1
		.amdhsa_reserve_flat_scratch 0
		.amdhsa_float_round_mode_32 0
		.amdhsa_float_round_mode_16_64 0
		.amdhsa_float_denorm_mode_32 3
		.amdhsa_float_denorm_mode_16_64 3
		.amdhsa_dx10_clamp 1
		.amdhsa_ieee_mode 1
		.amdhsa_fp16_overflow 0
		.amdhsa_tg_split 0
		.amdhsa_exception_fp_ieee_invalid_op 0
		.amdhsa_exception_fp_denorm_src 0
		.amdhsa_exception_fp_ieee_div_zero 0
		.amdhsa_exception_fp_ieee_overflow 0
		.amdhsa_exception_fp_ieee_underflow 0
		.amdhsa_exception_fp_ieee_inexact 0
		.amdhsa_exception_int_div_zero 0
	.end_amdhsa_kernel
	.section	.text._ZN7rocprim17ROCPRIM_400000_NS6detail17trampoline_kernelINS0_14default_configENS1_22reduce_config_selectorIfEEZNS1_11reduce_implILb1ES3_N6thrust23THRUST_200600_302600_NS11hip_rocprim35transform_pair_of_input_iterators_tIfNS8_6detail15normal_iteratorINS8_10device_ptrIfEEEESF_8abs_diffIfEEEPffNS8_7maximumIfEEEE10hipError_tPvRmT1_T2_T3_mT4_P12ihipStream_tbEUlT_E0_NS1_11comp_targetILNS1_3genE4ELNS1_11target_archE910ELNS1_3gpuE8ELNS1_3repE0EEENS1_30default_config_static_selectorELNS0_4arch9wavefront6targetE1EEEvSP_,"axG",@progbits,_ZN7rocprim17ROCPRIM_400000_NS6detail17trampoline_kernelINS0_14default_configENS1_22reduce_config_selectorIfEEZNS1_11reduce_implILb1ES3_N6thrust23THRUST_200600_302600_NS11hip_rocprim35transform_pair_of_input_iterators_tIfNS8_6detail15normal_iteratorINS8_10device_ptrIfEEEESF_8abs_diffIfEEEPffNS8_7maximumIfEEEE10hipError_tPvRmT1_T2_T3_mT4_P12ihipStream_tbEUlT_E0_NS1_11comp_targetILNS1_3genE4ELNS1_11target_archE910ELNS1_3gpuE8ELNS1_3repE0EEENS1_30default_config_static_selectorELNS0_4arch9wavefront6targetE1EEEvSP_,comdat
.Lfunc_end21:
	.size	_ZN7rocprim17ROCPRIM_400000_NS6detail17trampoline_kernelINS0_14default_configENS1_22reduce_config_selectorIfEEZNS1_11reduce_implILb1ES3_N6thrust23THRUST_200600_302600_NS11hip_rocprim35transform_pair_of_input_iterators_tIfNS8_6detail15normal_iteratorINS8_10device_ptrIfEEEESF_8abs_diffIfEEEPffNS8_7maximumIfEEEE10hipError_tPvRmT1_T2_T3_mT4_P12ihipStream_tbEUlT_E0_NS1_11comp_targetILNS1_3genE4ELNS1_11target_archE910ELNS1_3gpuE8ELNS1_3repE0EEENS1_30default_config_static_selectorELNS0_4arch9wavefront6targetE1EEEvSP_, .Lfunc_end21-_ZN7rocprim17ROCPRIM_400000_NS6detail17trampoline_kernelINS0_14default_configENS1_22reduce_config_selectorIfEEZNS1_11reduce_implILb1ES3_N6thrust23THRUST_200600_302600_NS11hip_rocprim35transform_pair_of_input_iterators_tIfNS8_6detail15normal_iteratorINS8_10device_ptrIfEEEESF_8abs_diffIfEEEPffNS8_7maximumIfEEEE10hipError_tPvRmT1_T2_T3_mT4_P12ihipStream_tbEUlT_E0_NS1_11comp_targetILNS1_3genE4ELNS1_11target_archE910ELNS1_3gpuE8ELNS1_3repE0EEENS1_30default_config_static_selectorELNS0_4arch9wavefront6targetE1EEEvSP_
                                        ; -- End function
	.section	.AMDGPU.csdata,"",@progbits
; Kernel info:
; codeLenInByte = 2200
; NumSgprs: 36
; NumVgprs: 22
; NumAgprs: 0
; TotalNumVgprs: 22
; ScratchSize: 0
; MemoryBound: 0
; FloatMode: 240
; IeeeMode: 1
; LDSByteSize: 16 bytes/workgroup (compile time only)
; SGPRBlocks: 4
; VGPRBlocks: 2
; NumSGPRsForWavesPerEU: 36
; NumVGPRsForWavesPerEU: 22
; AccumOffset: 24
; Occupancy: 8
; WaveLimiterHint : 0
; COMPUTE_PGM_RSRC2:SCRATCH_EN: 0
; COMPUTE_PGM_RSRC2:USER_SGPR: 6
; COMPUTE_PGM_RSRC2:TRAP_HANDLER: 0
; COMPUTE_PGM_RSRC2:TGID_X_EN: 1
; COMPUTE_PGM_RSRC2:TGID_Y_EN: 0
; COMPUTE_PGM_RSRC2:TGID_Z_EN: 0
; COMPUTE_PGM_RSRC2:TIDIG_COMP_CNT: 0
; COMPUTE_PGM_RSRC3_GFX90A:ACCUM_OFFSET: 5
; COMPUTE_PGM_RSRC3_GFX90A:TG_SPLIT: 0
	.section	.text._ZN7rocprim17ROCPRIM_400000_NS6detail17trampoline_kernelINS0_14default_configENS1_22reduce_config_selectorIfEEZNS1_11reduce_implILb1ES3_N6thrust23THRUST_200600_302600_NS11hip_rocprim35transform_pair_of_input_iterators_tIfNS8_6detail15normal_iteratorINS8_10device_ptrIfEEEESF_8abs_diffIfEEEPffNS8_7maximumIfEEEE10hipError_tPvRmT1_T2_T3_mT4_P12ihipStream_tbEUlT_E0_NS1_11comp_targetILNS1_3genE3ELNS1_11target_archE908ELNS1_3gpuE7ELNS1_3repE0EEENS1_30default_config_static_selectorELNS0_4arch9wavefront6targetE1EEEvSP_,"axG",@progbits,_ZN7rocprim17ROCPRIM_400000_NS6detail17trampoline_kernelINS0_14default_configENS1_22reduce_config_selectorIfEEZNS1_11reduce_implILb1ES3_N6thrust23THRUST_200600_302600_NS11hip_rocprim35transform_pair_of_input_iterators_tIfNS8_6detail15normal_iteratorINS8_10device_ptrIfEEEESF_8abs_diffIfEEEPffNS8_7maximumIfEEEE10hipError_tPvRmT1_T2_T3_mT4_P12ihipStream_tbEUlT_E0_NS1_11comp_targetILNS1_3genE3ELNS1_11target_archE908ELNS1_3gpuE7ELNS1_3repE0EEENS1_30default_config_static_selectorELNS0_4arch9wavefront6targetE1EEEvSP_,comdat
	.protected	_ZN7rocprim17ROCPRIM_400000_NS6detail17trampoline_kernelINS0_14default_configENS1_22reduce_config_selectorIfEEZNS1_11reduce_implILb1ES3_N6thrust23THRUST_200600_302600_NS11hip_rocprim35transform_pair_of_input_iterators_tIfNS8_6detail15normal_iteratorINS8_10device_ptrIfEEEESF_8abs_diffIfEEEPffNS8_7maximumIfEEEE10hipError_tPvRmT1_T2_T3_mT4_P12ihipStream_tbEUlT_E0_NS1_11comp_targetILNS1_3genE3ELNS1_11target_archE908ELNS1_3gpuE7ELNS1_3repE0EEENS1_30default_config_static_selectorELNS0_4arch9wavefront6targetE1EEEvSP_ ; -- Begin function _ZN7rocprim17ROCPRIM_400000_NS6detail17trampoline_kernelINS0_14default_configENS1_22reduce_config_selectorIfEEZNS1_11reduce_implILb1ES3_N6thrust23THRUST_200600_302600_NS11hip_rocprim35transform_pair_of_input_iterators_tIfNS8_6detail15normal_iteratorINS8_10device_ptrIfEEEESF_8abs_diffIfEEEPffNS8_7maximumIfEEEE10hipError_tPvRmT1_T2_T3_mT4_P12ihipStream_tbEUlT_E0_NS1_11comp_targetILNS1_3genE3ELNS1_11target_archE908ELNS1_3gpuE7ELNS1_3repE0EEENS1_30default_config_static_selectorELNS0_4arch9wavefront6targetE1EEEvSP_
	.globl	_ZN7rocprim17ROCPRIM_400000_NS6detail17trampoline_kernelINS0_14default_configENS1_22reduce_config_selectorIfEEZNS1_11reduce_implILb1ES3_N6thrust23THRUST_200600_302600_NS11hip_rocprim35transform_pair_of_input_iterators_tIfNS8_6detail15normal_iteratorINS8_10device_ptrIfEEEESF_8abs_diffIfEEEPffNS8_7maximumIfEEEE10hipError_tPvRmT1_T2_T3_mT4_P12ihipStream_tbEUlT_E0_NS1_11comp_targetILNS1_3genE3ELNS1_11target_archE908ELNS1_3gpuE7ELNS1_3repE0EEENS1_30default_config_static_selectorELNS0_4arch9wavefront6targetE1EEEvSP_
	.p2align	8
	.type	_ZN7rocprim17ROCPRIM_400000_NS6detail17trampoline_kernelINS0_14default_configENS1_22reduce_config_selectorIfEEZNS1_11reduce_implILb1ES3_N6thrust23THRUST_200600_302600_NS11hip_rocprim35transform_pair_of_input_iterators_tIfNS8_6detail15normal_iteratorINS8_10device_ptrIfEEEESF_8abs_diffIfEEEPffNS8_7maximumIfEEEE10hipError_tPvRmT1_T2_T3_mT4_P12ihipStream_tbEUlT_E0_NS1_11comp_targetILNS1_3genE3ELNS1_11target_archE908ELNS1_3gpuE7ELNS1_3repE0EEENS1_30default_config_static_selectorELNS0_4arch9wavefront6targetE1EEEvSP_,@function
_ZN7rocprim17ROCPRIM_400000_NS6detail17trampoline_kernelINS0_14default_configENS1_22reduce_config_selectorIfEEZNS1_11reduce_implILb1ES3_N6thrust23THRUST_200600_302600_NS11hip_rocprim35transform_pair_of_input_iterators_tIfNS8_6detail15normal_iteratorINS8_10device_ptrIfEEEESF_8abs_diffIfEEEPffNS8_7maximumIfEEEE10hipError_tPvRmT1_T2_T3_mT4_P12ihipStream_tbEUlT_E0_NS1_11comp_targetILNS1_3genE3ELNS1_11target_archE908ELNS1_3gpuE7ELNS1_3repE0EEENS1_30default_config_static_selectorELNS0_4arch9wavefront6targetE1EEEvSP_: ; @_ZN7rocprim17ROCPRIM_400000_NS6detail17trampoline_kernelINS0_14default_configENS1_22reduce_config_selectorIfEEZNS1_11reduce_implILb1ES3_N6thrust23THRUST_200600_302600_NS11hip_rocprim35transform_pair_of_input_iterators_tIfNS8_6detail15normal_iteratorINS8_10device_ptrIfEEEESF_8abs_diffIfEEEPffNS8_7maximumIfEEEE10hipError_tPvRmT1_T2_T3_mT4_P12ihipStream_tbEUlT_E0_NS1_11comp_targetILNS1_3genE3ELNS1_11target_archE908ELNS1_3gpuE7ELNS1_3repE0EEENS1_30default_config_static_selectorELNS0_4arch9wavefront6targetE1EEEvSP_
; %bb.0:
	.section	.rodata,"a",@progbits
	.p2align	6, 0x0
	.amdhsa_kernel _ZN7rocprim17ROCPRIM_400000_NS6detail17trampoline_kernelINS0_14default_configENS1_22reduce_config_selectorIfEEZNS1_11reduce_implILb1ES3_N6thrust23THRUST_200600_302600_NS11hip_rocprim35transform_pair_of_input_iterators_tIfNS8_6detail15normal_iteratorINS8_10device_ptrIfEEEESF_8abs_diffIfEEEPffNS8_7maximumIfEEEE10hipError_tPvRmT1_T2_T3_mT4_P12ihipStream_tbEUlT_E0_NS1_11comp_targetILNS1_3genE3ELNS1_11target_archE908ELNS1_3gpuE7ELNS1_3repE0EEENS1_30default_config_static_selectorELNS0_4arch9wavefront6targetE1EEEvSP_
		.amdhsa_group_segment_fixed_size 0
		.amdhsa_private_segment_fixed_size 0
		.amdhsa_kernarg_size 72
		.amdhsa_user_sgpr_count 6
		.amdhsa_user_sgpr_private_segment_buffer 1
		.amdhsa_user_sgpr_dispatch_ptr 0
		.amdhsa_user_sgpr_queue_ptr 0
		.amdhsa_user_sgpr_kernarg_segment_ptr 1
		.amdhsa_user_sgpr_dispatch_id 0
		.amdhsa_user_sgpr_flat_scratch_init 0
		.amdhsa_user_sgpr_kernarg_preload_length 0
		.amdhsa_user_sgpr_kernarg_preload_offset 0
		.amdhsa_user_sgpr_private_segment_size 0
		.amdhsa_uses_dynamic_stack 0
		.amdhsa_system_sgpr_private_segment_wavefront_offset 0
		.amdhsa_system_sgpr_workgroup_id_x 1
		.amdhsa_system_sgpr_workgroup_id_y 0
		.amdhsa_system_sgpr_workgroup_id_z 0
		.amdhsa_system_sgpr_workgroup_info 0
		.amdhsa_system_vgpr_workitem_id 0
		.amdhsa_next_free_vgpr 1
		.amdhsa_next_free_sgpr 0
		.amdhsa_accum_offset 4
		.amdhsa_reserve_vcc 0
		.amdhsa_reserve_flat_scratch 0
		.amdhsa_float_round_mode_32 0
		.amdhsa_float_round_mode_16_64 0
		.amdhsa_float_denorm_mode_32 3
		.amdhsa_float_denorm_mode_16_64 3
		.amdhsa_dx10_clamp 1
		.amdhsa_ieee_mode 1
		.amdhsa_fp16_overflow 0
		.amdhsa_tg_split 0
		.amdhsa_exception_fp_ieee_invalid_op 0
		.amdhsa_exception_fp_denorm_src 0
		.amdhsa_exception_fp_ieee_div_zero 0
		.amdhsa_exception_fp_ieee_overflow 0
		.amdhsa_exception_fp_ieee_underflow 0
		.amdhsa_exception_fp_ieee_inexact 0
		.amdhsa_exception_int_div_zero 0
	.end_amdhsa_kernel
	.section	.text._ZN7rocprim17ROCPRIM_400000_NS6detail17trampoline_kernelINS0_14default_configENS1_22reduce_config_selectorIfEEZNS1_11reduce_implILb1ES3_N6thrust23THRUST_200600_302600_NS11hip_rocprim35transform_pair_of_input_iterators_tIfNS8_6detail15normal_iteratorINS8_10device_ptrIfEEEESF_8abs_diffIfEEEPffNS8_7maximumIfEEEE10hipError_tPvRmT1_T2_T3_mT4_P12ihipStream_tbEUlT_E0_NS1_11comp_targetILNS1_3genE3ELNS1_11target_archE908ELNS1_3gpuE7ELNS1_3repE0EEENS1_30default_config_static_selectorELNS0_4arch9wavefront6targetE1EEEvSP_,"axG",@progbits,_ZN7rocprim17ROCPRIM_400000_NS6detail17trampoline_kernelINS0_14default_configENS1_22reduce_config_selectorIfEEZNS1_11reduce_implILb1ES3_N6thrust23THRUST_200600_302600_NS11hip_rocprim35transform_pair_of_input_iterators_tIfNS8_6detail15normal_iteratorINS8_10device_ptrIfEEEESF_8abs_diffIfEEEPffNS8_7maximumIfEEEE10hipError_tPvRmT1_T2_T3_mT4_P12ihipStream_tbEUlT_E0_NS1_11comp_targetILNS1_3genE3ELNS1_11target_archE908ELNS1_3gpuE7ELNS1_3repE0EEENS1_30default_config_static_selectorELNS0_4arch9wavefront6targetE1EEEvSP_,comdat
.Lfunc_end22:
	.size	_ZN7rocprim17ROCPRIM_400000_NS6detail17trampoline_kernelINS0_14default_configENS1_22reduce_config_selectorIfEEZNS1_11reduce_implILb1ES3_N6thrust23THRUST_200600_302600_NS11hip_rocprim35transform_pair_of_input_iterators_tIfNS8_6detail15normal_iteratorINS8_10device_ptrIfEEEESF_8abs_diffIfEEEPffNS8_7maximumIfEEEE10hipError_tPvRmT1_T2_T3_mT4_P12ihipStream_tbEUlT_E0_NS1_11comp_targetILNS1_3genE3ELNS1_11target_archE908ELNS1_3gpuE7ELNS1_3repE0EEENS1_30default_config_static_selectorELNS0_4arch9wavefront6targetE1EEEvSP_, .Lfunc_end22-_ZN7rocprim17ROCPRIM_400000_NS6detail17trampoline_kernelINS0_14default_configENS1_22reduce_config_selectorIfEEZNS1_11reduce_implILb1ES3_N6thrust23THRUST_200600_302600_NS11hip_rocprim35transform_pair_of_input_iterators_tIfNS8_6detail15normal_iteratorINS8_10device_ptrIfEEEESF_8abs_diffIfEEEPffNS8_7maximumIfEEEE10hipError_tPvRmT1_T2_T3_mT4_P12ihipStream_tbEUlT_E0_NS1_11comp_targetILNS1_3genE3ELNS1_11target_archE908ELNS1_3gpuE7ELNS1_3repE0EEENS1_30default_config_static_selectorELNS0_4arch9wavefront6targetE1EEEvSP_
                                        ; -- End function
	.section	.AMDGPU.csdata,"",@progbits
; Kernel info:
; codeLenInByte = 0
; NumSgprs: 4
; NumVgprs: 0
; NumAgprs: 0
; TotalNumVgprs: 0
; ScratchSize: 0
; MemoryBound: 0
; FloatMode: 240
; IeeeMode: 1
; LDSByteSize: 0 bytes/workgroup (compile time only)
; SGPRBlocks: 0
; VGPRBlocks: 0
; NumSGPRsForWavesPerEU: 4
; NumVGPRsForWavesPerEU: 1
; AccumOffset: 4
; Occupancy: 8
; WaveLimiterHint : 0
; COMPUTE_PGM_RSRC2:SCRATCH_EN: 0
; COMPUTE_PGM_RSRC2:USER_SGPR: 6
; COMPUTE_PGM_RSRC2:TRAP_HANDLER: 0
; COMPUTE_PGM_RSRC2:TGID_X_EN: 1
; COMPUTE_PGM_RSRC2:TGID_Y_EN: 0
; COMPUTE_PGM_RSRC2:TGID_Z_EN: 0
; COMPUTE_PGM_RSRC2:TIDIG_COMP_CNT: 0
; COMPUTE_PGM_RSRC3_GFX90A:ACCUM_OFFSET: 0
; COMPUTE_PGM_RSRC3_GFX90A:TG_SPLIT: 0
	.section	.text._ZN7rocprim17ROCPRIM_400000_NS6detail17trampoline_kernelINS0_14default_configENS1_22reduce_config_selectorIfEEZNS1_11reduce_implILb1ES3_N6thrust23THRUST_200600_302600_NS11hip_rocprim35transform_pair_of_input_iterators_tIfNS8_6detail15normal_iteratorINS8_10device_ptrIfEEEESF_8abs_diffIfEEEPffNS8_7maximumIfEEEE10hipError_tPvRmT1_T2_T3_mT4_P12ihipStream_tbEUlT_E0_NS1_11comp_targetILNS1_3genE2ELNS1_11target_archE906ELNS1_3gpuE6ELNS1_3repE0EEENS1_30default_config_static_selectorELNS0_4arch9wavefront6targetE1EEEvSP_,"axG",@progbits,_ZN7rocprim17ROCPRIM_400000_NS6detail17trampoline_kernelINS0_14default_configENS1_22reduce_config_selectorIfEEZNS1_11reduce_implILb1ES3_N6thrust23THRUST_200600_302600_NS11hip_rocprim35transform_pair_of_input_iterators_tIfNS8_6detail15normal_iteratorINS8_10device_ptrIfEEEESF_8abs_diffIfEEEPffNS8_7maximumIfEEEE10hipError_tPvRmT1_T2_T3_mT4_P12ihipStream_tbEUlT_E0_NS1_11comp_targetILNS1_3genE2ELNS1_11target_archE906ELNS1_3gpuE6ELNS1_3repE0EEENS1_30default_config_static_selectorELNS0_4arch9wavefront6targetE1EEEvSP_,comdat
	.protected	_ZN7rocprim17ROCPRIM_400000_NS6detail17trampoline_kernelINS0_14default_configENS1_22reduce_config_selectorIfEEZNS1_11reduce_implILb1ES3_N6thrust23THRUST_200600_302600_NS11hip_rocprim35transform_pair_of_input_iterators_tIfNS8_6detail15normal_iteratorINS8_10device_ptrIfEEEESF_8abs_diffIfEEEPffNS8_7maximumIfEEEE10hipError_tPvRmT1_T2_T3_mT4_P12ihipStream_tbEUlT_E0_NS1_11comp_targetILNS1_3genE2ELNS1_11target_archE906ELNS1_3gpuE6ELNS1_3repE0EEENS1_30default_config_static_selectorELNS0_4arch9wavefront6targetE1EEEvSP_ ; -- Begin function _ZN7rocprim17ROCPRIM_400000_NS6detail17trampoline_kernelINS0_14default_configENS1_22reduce_config_selectorIfEEZNS1_11reduce_implILb1ES3_N6thrust23THRUST_200600_302600_NS11hip_rocprim35transform_pair_of_input_iterators_tIfNS8_6detail15normal_iteratorINS8_10device_ptrIfEEEESF_8abs_diffIfEEEPffNS8_7maximumIfEEEE10hipError_tPvRmT1_T2_T3_mT4_P12ihipStream_tbEUlT_E0_NS1_11comp_targetILNS1_3genE2ELNS1_11target_archE906ELNS1_3gpuE6ELNS1_3repE0EEENS1_30default_config_static_selectorELNS0_4arch9wavefront6targetE1EEEvSP_
	.globl	_ZN7rocprim17ROCPRIM_400000_NS6detail17trampoline_kernelINS0_14default_configENS1_22reduce_config_selectorIfEEZNS1_11reduce_implILb1ES3_N6thrust23THRUST_200600_302600_NS11hip_rocprim35transform_pair_of_input_iterators_tIfNS8_6detail15normal_iteratorINS8_10device_ptrIfEEEESF_8abs_diffIfEEEPffNS8_7maximumIfEEEE10hipError_tPvRmT1_T2_T3_mT4_P12ihipStream_tbEUlT_E0_NS1_11comp_targetILNS1_3genE2ELNS1_11target_archE906ELNS1_3gpuE6ELNS1_3repE0EEENS1_30default_config_static_selectorELNS0_4arch9wavefront6targetE1EEEvSP_
	.p2align	8
	.type	_ZN7rocprim17ROCPRIM_400000_NS6detail17trampoline_kernelINS0_14default_configENS1_22reduce_config_selectorIfEEZNS1_11reduce_implILb1ES3_N6thrust23THRUST_200600_302600_NS11hip_rocprim35transform_pair_of_input_iterators_tIfNS8_6detail15normal_iteratorINS8_10device_ptrIfEEEESF_8abs_diffIfEEEPffNS8_7maximumIfEEEE10hipError_tPvRmT1_T2_T3_mT4_P12ihipStream_tbEUlT_E0_NS1_11comp_targetILNS1_3genE2ELNS1_11target_archE906ELNS1_3gpuE6ELNS1_3repE0EEENS1_30default_config_static_selectorELNS0_4arch9wavefront6targetE1EEEvSP_,@function
_ZN7rocprim17ROCPRIM_400000_NS6detail17trampoline_kernelINS0_14default_configENS1_22reduce_config_selectorIfEEZNS1_11reduce_implILb1ES3_N6thrust23THRUST_200600_302600_NS11hip_rocprim35transform_pair_of_input_iterators_tIfNS8_6detail15normal_iteratorINS8_10device_ptrIfEEEESF_8abs_diffIfEEEPffNS8_7maximumIfEEEE10hipError_tPvRmT1_T2_T3_mT4_P12ihipStream_tbEUlT_E0_NS1_11comp_targetILNS1_3genE2ELNS1_11target_archE906ELNS1_3gpuE6ELNS1_3repE0EEENS1_30default_config_static_selectorELNS0_4arch9wavefront6targetE1EEEvSP_: ; @_ZN7rocprim17ROCPRIM_400000_NS6detail17trampoline_kernelINS0_14default_configENS1_22reduce_config_selectorIfEEZNS1_11reduce_implILb1ES3_N6thrust23THRUST_200600_302600_NS11hip_rocprim35transform_pair_of_input_iterators_tIfNS8_6detail15normal_iteratorINS8_10device_ptrIfEEEESF_8abs_diffIfEEEPffNS8_7maximumIfEEEE10hipError_tPvRmT1_T2_T3_mT4_P12ihipStream_tbEUlT_E0_NS1_11comp_targetILNS1_3genE2ELNS1_11target_archE906ELNS1_3gpuE6ELNS1_3repE0EEENS1_30default_config_static_selectorELNS0_4arch9wavefront6targetE1EEEvSP_
; %bb.0:
	.section	.rodata,"a",@progbits
	.p2align	6, 0x0
	.amdhsa_kernel _ZN7rocprim17ROCPRIM_400000_NS6detail17trampoline_kernelINS0_14default_configENS1_22reduce_config_selectorIfEEZNS1_11reduce_implILb1ES3_N6thrust23THRUST_200600_302600_NS11hip_rocprim35transform_pair_of_input_iterators_tIfNS8_6detail15normal_iteratorINS8_10device_ptrIfEEEESF_8abs_diffIfEEEPffNS8_7maximumIfEEEE10hipError_tPvRmT1_T2_T3_mT4_P12ihipStream_tbEUlT_E0_NS1_11comp_targetILNS1_3genE2ELNS1_11target_archE906ELNS1_3gpuE6ELNS1_3repE0EEENS1_30default_config_static_selectorELNS0_4arch9wavefront6targetE1EEEvSP_
		.amdhsa_group_segment_fixed_size 0
		.amdhsa_private_segment_fixed_size 0
		.amdhsa_kernarg_size 72
		.amdhsa_user_sgpr_count 6
		.amdhsa_user_sgpr_private_segment_buffer 1
		.amdhsa_user_sgpr_dispatch_ptr 0
		.amdhsa_user_sgpr_queue_ptr 0
		.amdhsa_user_sgpr_kernarg_segment_ptr 1
		.amdhsa_user_sgpr_dispatch_id 0
		.amdhsa_user_sgpr_flat_scratch_init 0
		.amdhsa_user_sgpr_kernarg_preload_length 0
		.amdhsa_user_sgpr_kernarg_preload_offset 0
		.amdhsa_user_sgpr_private_segment_size 0
		.amdhsa_uses_dynamic_stack 0
		.amdhsa_system_sgpr_private_segment_wavefront_offset 0
		.amdhsa_system_sgpr_workgroup_id_x 1
		.amdhsa_system_sgpr_workgroup_id_y 0
		.amdhsa_system_sgpr_workgroup_id_z 0
		.amdhsa_system_sgpr_workgroup_info 0
		.amdhsa_system_vgpr_workitem_id 0
		.amdhsa_next_free_vgpr 1
		.amdhsa_next_free_sgpr 0
		.amdhsa_accum_offset 4
		.amdhsa_reserve_vcc 0
		.amdhsa_reserve_flat_scratch 0
		.amdhsa_float_round_mode_32 0
		.amdhsa_float_round_mode_16_64 0
		.amdhsa_float_denorm_mode_32 3
		.amdhsa_float_denorm_mode_16_64 3
		.amdhsa_dx10_clamp 1
		.amdhsa_ieee_mode 1
		.amdhsa_fp16_overflow 0
		.amdhsa_tg_split 0
		.amdhsa_exception_fp_ieee_invalid_op 0
		.amdhsa_exception_fp_denorm_src 0
		.amdhsa_exception_fp_ieee_div_zero 0
		.amdhsa_exception_fp_ieee_overflow 0
		.amdhsa_exception_fp_ieee_underflow 0
		.amdhsa_exception_fp_ieee_inexact 0
		.amdhsa_exception_int_div_zero 0
	.end_amdhsa_kernel
	.section	.text._ZN7rocprim17ROCPRIM_400000_NS6detail17trampoline_kernelINS0_14default_configENS1_22reduce_config_selectorIfEEZNS1_11reduce_implILb1ES3_N6thrust23THRUST_200600_302600_NS11hip_rocprim35transform_pair_of_input_iterators_tIfNS8_6detail15normal_iteratorINS8_10device_ptrIfEEEESF_8abs_diffIfEEEPffNS8_7maximumIfEEEE10hipError_tPvRmT1_T2_T3_mT4_P12ihipStream_tbEUlT_E0_NS1_11comp_targetILNS1_3genE2ELNS1_11target_archE906ELNS1_3gpuE6ELNS1_3repE0EEENS1_30default_config_static_selectorELNS0_4arch9wavefront6targetE1EEEvSP_,"axG",@progbits,_ZN7rocprim17ROCPRIM_400000_NS6detail17trampoline_kernelINS0_14default_configENS1_22reduce_config_selectorIfEEZNS1_11reduce_implILb1ES3_N6thrust23THRUST_200600_302600_NS11hip_rocprim35transform_pair_of_input_iterators_tIfNS8_6detail15normal_iteratorINS8_10device_ptrIfEEEESF_8abs_diffIfEEEPffNS8_7maximumIfEEEE10hipError_tPvRmT1_T2_T3_mT4_P12ihipStream_tbEUlT_E0_NS1_11comp_targetILNS1_3genE2ELNS1_11target_archE906ELNS1_3gpuE6ELNS1_3repE0EEENS1_30default_config_static_selectorELNS0_4arch9wavefront6targetE1EEEvSP_,comdat
.Lfunc_end23:
	.size	_ZN7rocprim17ROCPRIM_400000_NS6detail17trampoline_kernelINS0_14default_configENS1_22reduce_config_selectorIfEEZNS1_11reduce_implILb1ES3_N6thrust23THRUST_200600_302600_NS11hip_rocprim35transform_pair_of_input_iterators_tIfNS8_6detail15normal_iteratorINS8_10device_ptrIfEEEESF_8abs_diffIfEEEPffNS8_7maximumIfEEEE10hipError_tPvRmT1_T2_T3_mT4_P12ihipStream_tbEUlT_E0_NS1_11comp_targetILNS1_3genE2ELNS1_11target_archE906ELNS1_3gpuE6ELNS1_3repE0EEENS1_30default_config_static_selectorELNS0_4arch9wavefront6targetE1EEEvSP_, .Lfunc_end23-_ZN7rocprim17ROCPRIM_400000_NS6detail17trampoline_kernelINS0_14default_configENS1_22reduce_config_selectorIfEEZNS1_11reduce_implILb1ES3_N6thrust23THRUST_200600_302600_NS11hip_rocprim35transform_pair_of_input_iterators_tIfNS8_6detail15normal_iteratorINS8_10device_ptrIfEEEESF_8abs_diffIfEEEPffNS8_7maximumIfEEEE10hipError_tPvRmT1_T2_T3_mT4_P12ihipStream_tbEUlT_E0_NS1_11comp_targetILNS1_3genE2ELNS1_11target_archE906ELNS1_3gpuE6ELNS1_3repE0EEENS1_30default_config_static_selectorELNS0_4arch9wavefront6targetE1EEEvSP_
                                        ; -- End function
	.section	.AMDGPU.csdata,"",@progbits
; Kernel info:
; codeLenInByte = 0
; NumSgprs: 4
; NumVgprs: 0
; NumAgprs: 0
; TotalNumVgprs: 0
; ScratchSize: 0
; MemoryBound: 0
; FloatMode: 240
; IeeeMode: 1
; LDSByteSize: 0 bytes/workgroup (compile time only)
; SGPRBlocks: 0
; VGPRBlocks: 0
; NumSGPRsForWavesPerEU: 4
; NumVGPRsForWavesPerEU: 1
; AccumOffset: 4
; Occupancy: 8
; WaveLimiterHint : 0
; COMPUTE_PGM_RSRC2:SCRATCH_EN: 0
; COMPUTE_PGM_RSRC2:USER_SGPR: 6
; COMPUTE_PGM_RSRC2:TRAP_HANDLER: 0
; COMPUTE_PGM_RSRC2:TGID_X_EN: 1
; COMPUTE_PGM_RSRC2:TGID_Y_EN: 0
; COMPUTE_PGM_RSRC2:TGID_Z_EN: 0
; COMPUTE_PGM_RSRC2:TIDIG_COMP_CNT: 0
; COMPUTE_PGM_RSRC3_GFX90A:ACCUM_OFFSET: 0
; COMPUTE_PGM_RSRC3_GFX90A:TG_SPLIT: 0
	.section	.text._ZN7rocprim17ROCPRIM_400000_NS6detail17trampoline_kernelINS0_14default_configENS1_22reduce_config_selectorIfEEZNS1_11reduce_implILb1ES3_N6thrust23THRUST_200600_302600_NS11hip_rocprim35transform_pair_of_input_iterators_tIfNS8_6detail15normal_iteratorINS8_10device_ptrIfEEEESF_8abs_diffIfEEEPffNS8_7maximumIfEEEE10hipError_tPvRmT1_T2_T3_mT4_P12ihipStream_tbEUlT_E0_NS1_11comp_targetILNS1_3genE10ELNS1_11target_archE1201ELNS1_3gpuE5ELNS1_3repE0EEENS1_30default_config_static_selectorELNS0_4arch9wavefront6targetE1EEEvSP_,"axG",@progbits,_ZN7rocprim17ROCPRIM_400000_NS6detail17trampoline_kernelINS0_14default_configENS1_22reduce_config_selectorIfEEZNS1_11reduce_implILb1ES3_N6thrust23THRUST_200600_302600_NS11hip_rocprim35transform_pair_of_input_iterators_tIfNS8_6detail15normal_iteratorINS8_10device_ptrIfEEEESF_8abs_diffIfEEEPffNS8_7maximumIfEEEE10hipError_tPvRmT1_T2_T3_mT4_P12ihipStream_tbEUlT_E0_NS1_11comp_targetILNS1_3genE10ELNS1_11target_archE1201ELNS1_3gpuE5ELNS1_3repE0EEENS1_30default_config_static_selectorELNS0_4arch9wavefront6targetE1EEEvSP_,comdat
	.protected	_ZN7rocprim17ROCPRIM_400000_NS6detail17trampoline_kernelINS0_14default_configENS1_22reduce_config_selectorIfEEZNS1_11reduce_implILb1ES3_N6thrust23THRUST_200600_302600_NS11hip_rocprim35transform_pair_of_input_iterators_tIfNS8_6detail15normal_iteratorINS8_10device_ptrIfEEEESF_8abs_diffIfEEEPffNS8_7maximumIfEEEE10hipError_tPvRmT1_T2_T3_mT4_P12ihipStream_tbEUlT_E0_NS1_11comp_targetILNS1_3genE10ELNS1_11target_archE1201ELNS1_3gpuE5ELNS1_3repE0EEENS1_30default_config_static_selectorELNS0_4arch9wavefront6targetE1EEEvSP_ ; -- Begin function _ZN7rocprim17ROCPRIM_400000_NS6detail17trampoline_kernelINS0_14default_configENS1_22reduce_config_selectorIfEEZNS1_11reduce_implILb1ES3_N6thrust23THRUST_200600_302600_NS11hip_rocprim35transform_pair_of_input_iterators_tIfNS8_6detail15normal_iteratorINS8_10device_ptrIfEEEESF_8abs_diffIfEEEPffNS8_7maximumIfEEEE10hipError_tPvRmT1_T2_T3_mT4_P12ihipStream_tbEUlT_E0_NS1_11comp_targetILNS1_3genE10ELNS1_11target_archE1201ELNS1_3gpuE5ELNS1_3repE0EEENS1_30default_config_static_selectorELNS0_4arch9wavefront6targetE1EEEvSP_
	.globl	_ZN7rocprim17ROCPRIM_400000_NS6detail17trampoline_kernelINS0_14default_configENS1_22reduce_config_selectorIfEEZNS1_11reduce_implILb1ES3_N6thrust23THRUST_200600_302600_NS11hip_rocprim35transform_pair_of_input_iterators_tIfNS8_6detail15normal_iteratorINS8_10device_ptrIfEEEESF_8abs_diffIfEEEPffNS8_7maximumIfEEEE10hipError_tPvRmT1_T2_T3_mT4_P12ihipStream_tbEUlT_E0_NS1_11comp_targetILNS1_3genE10ELNS1_11target_archE1201ELNS1_3gpuE5ELNS1_3repE0EEENS1_30default_config_static_selectorELNS0_4arch9wavefront6targetE1EEEvSP_
	.p2align	8
	.type	_ZN7rocprim17ROCPRIM_400000_NS6detail17trampoline_kernelINS0_14default_configENS1_22reduce_config_selectorIfEEZNS1_11reduce_implILb1ES3_N6thrust23THRUST_200600_302600_NS11hip_rocprim35transform_pair_of_input_iterators_tIfNS8_6detail15normal_iteratorINS8_10device_ptrIfEEEESF_8abs_diffIfEEEPffNS8_7maximumIfEEEE10hipError_tPvRmT1_T2_T3_mT4_P12ihipStream_tbEUlT_E0_NS1_11comp_targetILNS1_3genE10ELNS1_11target_archE1201ELNS1_3gpuE5ELNS1_3repE0EEENS1_30default_config_static_selectorELNS0_4arch9wavefront6targetE1EEEvSP_,@function
_ZN7rocprim17ROCPRIM_400000_NS6detail17trampoline_kernelINS0_14default_configENS1_22reduce_config_selectorIfEEZNS1_11reduce_implILb1ES3_N6thrust23THRUST_200600_302600_NS11hip_rocprim35transform_pair_of_input_iterators_tIfNS8_6detail15normal_iteratorINS8_10device_ptrIfEEEESF_8abs_diffIfEEEPffNS8_7maximumIfEEEE10hipError_tPvRmT1_T2_T3_mT4_P12ihipStream_tbEUlT_E0_NS1_11comp_targetILNS1_3genE10ELNS1_11target_archE1201ELNS1_3gpuE5ELNS1_3repE0EEENS1_30default_config_static_selectorELNS0_4arch9wavefront6targetE1EEEvSP_: ; @_ZN7rocprim17ROCPRIM_400000_NS6detail17trampoline_kernelINS0_14default_configENS1_22reduce_config_selectorIfEEZNS1_11reduce_implILb1ES3_N6thrust23THRUST_200600_302600_NS11hip_rocprim35transform_pair_of_input_iterators_tIfNS8_6detail15normal_iteratorINS8_10device_ptrIfEEEESF_8abs_diffIfEEEPffNS8_7maximumIfEEEE10hipError_tPvRmT1_T2_T3_mT4_P12ihipStream_tbEUlT_E0_NS1_11comp_targetILNS1_3genE10ELNS1_11target_archE1201ELNS1_3gpuE5ELNS1_3repE0EEENS1_30default_config_static_selectorELNS0_4arch9wavefront6targetE1EEEvSP_
; %bb.0:
	.section	.rodata,"a",@progbits
	.p2align	6, 0x0
	.amdhsa_kernel _ZN7rocprim17ROCPRIM_400000_NS6detail17trampoline_kernelINS0_14default_configENS1_22reduce_config_selectorIfEEZNS1_11reduce_implILb1ES3_N6thrust23THRUST_200600_302600_NS11hip_rocprim35transform_pair_of_input_iterators_tIfNS8_6detail15normal_iteratorINS8_10device_ptrIfEEEESF_8abs_diffIfEEEPffNS8_7maximumIfEEEE10hipError_tPvRmT1_T2_T3_mT4_P12ihipStream_tbEUlT_E0_NS1_11comp_targetILNS1_3genE10ELNS1_11target_archE1201ELNS1_3gpuE5ELNS1_3repE0EEENS1_30default_config_static_selectorELNS0_4arch9wavefront6targetE1EEEvSP_
		.amdhsa_group_segment_fixed_size 0
		.amdhsa_private_segment_fixed_size 0
		.amdhsa_kernarg_size 72
		.amdhsa_user_sgpr_count 6
		.amdhsa_user_sgpr_private_segment_buffer 1
		.amdhsa_user_sgpr_dispatch_ptr 0
		.amdhsa_user_sgpr_queue_ptr 0
		.amdhsa_user_sgpr_kernarg_segment_ptr 1
		.amdhsa_user_sgpr_dispatch_id 0
		.amdhsa_user_sgpr_flat_scratch_init 0
		.amdhsa_user_sgpr_kernarg_preload_length 0
		.amdhsa_user_sgpr_kernarg_preload_offset 0
		.amdhsa_user_sgpr_private_segment_size 0
		.amdhsa_uses_dynamic_stack 0
		.amdhsa_system_sgpr_private_segment_wavefront_offset 0
		.amdhsa_system_sgpr_workgroup_id_x 1
		.amdhsa_system_sgpr_workgroup_id_y 0
		.amdhsa_system_sgpr_workgroup_id_z 0
		.amdhsa_system_sgpr_workgroup_info 0
		.amdhsa_system_vgpr_workitem_id 0
		.amdhsa_next_free_vgpr 1
		.amdhsa_next_free_sgpr 0
		.amdhsa_accum_offset 4
		.amdhsa_reserve_vcc 0
		.amdhsa_reserve_flat_scratch 0
		.amdhsa_float_round_mode_32 0
		.amdhsa_float_round_mode_16_64 0
		.amdhsa_float_denorm_mode_32 3
		.amdhsa_float_denorm_mode_16_64 3
		.amdhsa_dx10_clamp 1
		.amdhsa_ieee_mode 1
		.amdhsa_fp16_overflow 0
		.amdhsa_tg_split 0
		.amdhsa_exception_fp_ieee_invalid_op 0
		.amdhsa_exception_fp_denorm_src 0
		.amdhsa_exception_fp_ieee_div_zero 0
		.amdhsa_exception_fp_ieee_overflow 0
		.amdhsa_exception_fp_ieee_underflow 0
		.amdhsa_exception_fp_ieee_inexact 0
		.amdhsa_exception_int_div_zero 0
	.end_amdhsa_kernel
	.section	.text._ZN7rocprim17ROCPRIM_400000_NS6detail17trampoline_kernelINS0_14default_configENS1_22reduce_config_selectorIfEEZNS1_11reduce_implILb1ES3_N6thrust23THRUST_200600_302600_NS11hip_rocprim35transform_pair_of_input_iterators_tIfNS8_6detail15normal_iteratorINS8_10device_ptrIfEEEESF_8abs_diffIfEEEPffNS8_7maximumIfEEEE10hipError_tPvRmT1_T2_T3_mT4_P12ihipStream_tbEUlT_E0_NS1_11comp_targetILNS1_3genE10ELNS1_11target_archE1201ELNS1_3gpuE5ELNS1_3repE0EEENS1_30default_config_static_selectorELNS0_4arch9wavefront6targetE1EEEvSP_,"axG",@progbits,_ZN7rocprim17ROCPRIM_400000_NS6detail17trampoline_kernelINS0_14default_configENS1_22reduce_config_selectorIfEEZNS1_11reduce_implILb1ES3_N6thrust23THRUST_200600_302600_NS11hip_rocprim35transform_pair_of_input_iterators_tIfNS8_6detail15normal_iteratorINS8_10device_ptrIfEEEESF_8abs_diffIfEEEPffNS8_7maximumIfEEEE10hipError_tPvRmT1_T2_T3_mT4_P12ihipStream_tbEUlT_E0_NS1_11comp_targetILNS1_3genE10ELNS1_11target_archE1201ELNS1_3gpuE5ELNS1_3repE0EEENS1_30default_config_static_selectorELNS0_4arch9wavefront6targetE1EEEvSP_,comdat
.Lfunc_end24:
	.size	_ZN7rocprim17ROCPRIM_400000_NS6detail17trampoline_kernelINS0_14default_configENS1_22reduce_config_selectorIfEEZNS1_11reduce_implILb1ES3_N6thrust23THRUST_200600_302600_NS11hip_rocprim35transform_pair_of_input_iterators_tIfNS8_6detail15normal_iteratorINS8_10device_ptrIfEEEESF_8abs_diffIfEEEPffNS8_7maximumIfEEEE10hipError_tPvRmT1_T2_T3_mT4_P12ihipStream_tbEUlT_E0_NS1_11comp_targetILNS1_3genE10ELNS1_11target_archE1201ELNS1_3gpuE5ELNS1_3repE0EEENS1_30default_config_static_selectorELNS0_4arch9wavefront6targetE1EEEvSP_, .Lfunc_end24-_ZN7rocprim17ROCPRIM_400000_NS6detail17trampoline_kernelINS0_14default_configENS1_22reduce_config_selectorIfEEZNS1_11reduce_implILb1ES3_N6thrust23THRUST_200600_302600_NS11hip_rocprim35transform_pair_of_input_iterators_tIfNS8_6detail15normal_iteratorINS8_10device_ptrIfEEEESF_8abs_diffIfEEEPffNS8_7maximumIfEEEE10hipError_tPvRmT1_T2_T3_mT4_P12ihipStream_tbEUlT_E0_NS1_11comp_targetILNS1_3genE10ELNS1_11target_archE1201ELNS1_3gpuE5ELNS1_3repE0EEENS1_30default_config_static_selectorELNS0_4arch9wavefront6targetE1EEEvSP_
                                        ; -- End function
	.section	.AMDGPU.csdata,"",@progbits
; Kernel info:
; codeLenInByte = 0
; NumSgprs: 4
; NumVgprs: 0
; NumAgprs: 0
; TotalNumVgprs: 0
; ScratchSize: 0
; MemoryBound: 0
; FloatMode: 240
; IeeeMode: 1
; LDSByteSize: 0 bytes/workgroup (compile time only)
; SGPRBlocks: 0
; VGPRBlocks: 0
; NumSGPRsForWavesPerEU: 4
; NumVGPRsForWavesPerEU: 1
; AccumOffset: 4
; Occupancy: 8
; WaveLimiterHint : 0
; COMPUTE_PGM_RSRC2:SCRATCH_EN: 0
; COMPUTE_PGM_RSRC2:USER_SGPR: 6
; COMPUTE_PGM_RSRC2:TRAP_HANDLER: 0
; COMPUTE_PGM_RSRC2:TGID_X_EN: 1
; COMPUTE_PGM_RSRC2:TGID_Y_EN: 0
; COMPUTE_PGM_RSRC2:TGID_Z_EN: 0
; COMPUTE_PGM_RSRC2:TIDIG_COMP_CNT: 0
; COMPUTE_PGM_RSRC3_GFX90A:ACCUM_OFFSET: 0
; COMPUTE_PGM_RSRC3_GFX90A:TG_SPLIT: 0
	.section	.text._ZN7rocprim17ROCPRIM_400000_NS6detail17trampoline_kernelINS0_14default_configENS1_22reduce_config_selectorIfEEZNS1_11reduce_implILb1ES3_N6thrust23THRUST_200600_302600_NS11hip_rocprim35transform_pair_of_input_iterators_tIfNS8_6detail15normal_iteratorINS8_10device_ptrIfEEEESF_8abs_diffIfEEEPffNS8_7maximumIfEEEE10hipError_tPvRmT1_T2_T3_mT4_P12ihipStream_tbEUlT_E0_NS1_11comp_targetILNS1_3genE10ELNS1_11target_archE1200ELNS1_3gpuE4ELNS1_3repE0EEENS1_30default_config_static_selectorELNS0_4arch9wavefront6targetE1EEEvSP_,"axG",@progbits,_ZN7rocprim17ROCPRIM_400000_NS6detail17trampoline_kernelINS0_14default_configENS1_22reduce_config_selectorIfEEZNS1_11reduce_implILb1ES3_N6thrust23THRUST_200600_302600_NS11hip_rocprim35transform_pair_of_input_iterators_tIfNS8_6detail15normal_iteratorINS8_10device_ptrIfEEEESF_8abs_diffIfEEEPffNS8_7maximumIfEEEE10hipError_tPvRmT1_T2_T3_mT4_P12ihipStream_tbEUlT_E0_NS1_11comp_targetILNS1_3genE10ELNS1_11target_archE1200ELNS1_3gpuE4ELNS1_3repE0EEENS1_30default_config_static_selectorELNS0_4arch9wavefront6targetE1EEEvSP_,comdat
	.protected	_ZN7rocprim17ROCPRIM_400000_NS6detail17trampoline_kernelINS0_14default_configENS1_22reduce_config_selectorIfEEZNS1_11reduce_implILb1ES3_N6thrust23THRUST_200600_302600_NS11hip_rocprim35transform_pair_of_input_iterators_tIfNS8_6detail15normal_iteratorINS8_10device_ptrIfEEEESF_8abs_diffIfEEEPffNS8_7maximumIfEEEE10hipError_tPvRmT1_T2_T3_mT4_P12ihipStream_tbEUlT_E0_NS1_11comp_targetILNS1_3genE10ELNS1_11target_archE1200ELNS1_3gpuE4ELNS1_3repE0EEENS1_30default_config_static_selectorELNS0_4arch9wavefront6targetE1EEEvSP_ ; -- Begin function _ZN7rocprim17ROCPRIM_400000_NS6detail17trampoline_kernelINS0_14default_configENS1_22reduce_config_selectorIfEEZNS1_11reduce_implILb1ES3_N6thrust23THRUST_200600_302600_NS11hip_rocprim35transform_pair_of_input_iterators_tIfNS8_6detail15normal_iteratorINS8_10device_ptrIfEEEESF_8abs_diffIfEEEPffNS8_7maximumIfEEEE10hipError_tPvRmT1_T2_T3_mT4_P12ihipStream_tbEUlT_E0_NS1_11comp_targetILNS1_3genE10ELNS1_11target_archE1200ELNS1_3gpuE4ELNS1_3repE0EEENS1_30default_config_static_selectorELNS0_4arch9wavefront6targetE1EEEvSP_
	.globl	_ZN7rocprim17ROCPRIM_400000_NS6detail17trampoline_kernelINS0_14default_configENS1_22reduce_config_selectorIfEEZNS1_11reduce_implILb1ES3_N6thrust23THRUST_200600_302600_NS11hip_rocprim35transform_pair_of_input_iterators_tIfNS8_6detail15normal_iteratorINS8_10device_ptrIfEEEESF_8abs_diffIfEEEPffNS8_7maximumIfEEEE10hipError_tPvRmT1_T2_T3_mT4_P12ihipStream_tbEUlT_E0_NS1_11comp_targetILNS1_3genE10ELNS1_11target_archE1200ELNS1_3gpuE4ELNS1_3repE0EEENS1_30default_config_static_selectorELNS0_4arch9wavefront6targetE1EEEvSP_
	.p2align	8
	.type	_ZN7rocprim17ROCPRIM_400000_NS6detail17trampoline_kernelINS0_14default_configENS1_22reduce_config_selectorIfEEZNS1_11reduce_implILb1ES3_N6thrust23THRUST_200600_302600_NS11hip_rocprim35transform_pair_of_input_iterators_tIfNS8_6detail15normal_iteratorINS8_10device_ptrIfEEEESF_8abs_diffIfEEEPffNS8_7maximumIfEEEE10hipError_tPvRmT1_T2_T3_mT4_P12ihipStream_tbEUlT_E0_NS1_11comp_targetILNS1_3genE10ELNS1_11target_archE1200ELNS1_3gpuE4ELNS1_3repE0EEENS1_30default_config_static_selectorELNS0_4arch9wavefront6targetE1EEEvSP_,@function
_ZN7rocprim17ROCPRIM_400000_NS6detail17trampoline_kernelINS0_14default_configENS1_22reduce_config_selectorIfEEZNS1_11reduce_implILb1ES3_N6thrust23THRUST_200600_302600_NS11hip_rocprim35transform_pair_of_input_iterators_tIfNS8_6detail15normal_iteratorINS8_10device_ptrIfEEEESF_8abs_diffIfEEEPffNS8_7maximumIfEEEE10hipError_tPvRmT1_T2_T3_mT4_P12ihipStream_tbEUlT_E0_NS1_11comp_targetILNS1_3genE10ELNS1_11target_archE1200ELNS1_3gpuE4ELNS1_3repE0EEENS1_30default_config_static_selectorELNS0_4arch9wavefront6targetE1EEEvSP_: ; @_ZN7rocprim17ROCPRIM_400000_NS6detail17trampoline_kernelINS0_14default_configENS1_22reduce_config_selectorIfEEZNS1_11reduce_implILb1ES3_N6thrust23THRUST_200600_302600_NS11hip_rocprim35transform_pair_of_input_iterators_tIfNS8_6detail15normal_iteratorINS8_10device_ptrIfEEEESF_8abs_diffIfEEEPffNS8_7maximumIfEEEE10hipError_tPvRmT1_T2_T3_mT4_P12ihipStream_tbEUlT_E0_NS1_11comp_targetILNS1_3genE10ELNS1_11target_archE1200ELNS1_3gpuE4ELNS1_3repE0EEENS1_30default_config_static_selectorELNS0_4arch9wavefront6targetE1EEEvSP_
; %bb.0:
	.section	.rodata,"a",@progbits
	.p2align	6, 0x0
	.amdhsa_kernel _ZN7rocprim17ROCPRIM_400000_NS6detail17trampoline_kernelINS0_14default_configENS1_22reduce_config_selectorIfEEZNS1_11reduce_implILb1ES3_N6thrust23THRUST_200600_302600_NS11hip_rocprim35transform_pair_of_input_iterators_tIfNS8_6detail15normal_iteratorINS8_10device_ptrIfEEEESF_8abs_diffIfEEEPffNS8_7maximumIfEEEE10hipError_tPvRmT1_T2_T3_mT4_P12ihipStream_tbEUlT_E0_NS1_11comp_targetILNS1_3genE10ELNS1_11target_archE1200ELNS1_3gpuE4ELNS1_3repE0EEENS1_30default_config_static_selectorELNS0_4arch9wavefront6targetE1EEEvSP_
		.amdhsa_group_segment_fixed_size 0
		.amdhsa_private_segment_fixed_size 0
		.amdhsa_kernarg_size 72
		.amdhsa_user_sgpr_count 6
		.amdhsa_user_sgpr_private_segment_buffer 1
		.amdhsa_user_sgpr_dispatch_ptr 0
		.amdhsa_user_sgpr_queue_ptr 0
		.amdhsa_user_sgpr_kernarg_segment_ptr 1
		.amdhsa_user_sgpr_dispatch_id 0
		.amdhsa_user_sgpr_flat_scratch_init 0
		.amdhsa_user_sgpr_kernarg_preload_length 0
		.amdhsa_user_sgpr_kernarg_preload_offset 0
		.amdhsa_user_sgpr_private_segment_size 0
		.amdhsa_uses_dynamic_stack 0
		.amdhsa_system_sgpr_private_segment_wavefront_offset 0
		.amdhsa_system_sgpr_workgroup_id_x 1
		.amdhsa_system_sgpr_workgroup_id_y 0
		.amdhsa_system_sgpr_workgroup_id_z 0
		.amdhsa_system_sgpr_workgroup_info 0
		.amdhsa_system_vgpr_workitem_id 0
		.amdhsa_next_free_vgpr 1
		.amdhsa_next_free_sgpr 0
		.amdhsa_accum_offset 4
		.amdhsa_reserve_vcc 0
		.amdhsa_reserve_flat_scratch 0
		.amdhsa_float_round_mode_32 0
		.amdhsa_float_round_mode_16_64 0
		.amdhsa_float_denorm_mode_32 3
		.amdhsa_float_denorm_mode_16_64 3
		.amdhsa_dx10_clamp 1
		.amdhsa_ieee_mode 1
		.amdhsa_fp16_overflow 0
		.amdhsa_tg_split 0
		.amdhsa_exception_fp_ieee_invalid_op 0
		.amdhsa_exception_fp_denorm_src 0
		.amdhsa_exception_fp_ieee_div_zero 0
		.amdhsa_exception_fp_ieee_overflow 0
		.amdhsa_exception_fp_ieee_underflow 0
		.amdhsa_exception_fp_ieee_inexact 0
		.amdhsa_exception_int_div_zero 0
	.end_amdhsa_kernel
	.section	.text._ZN7rocprim17ROCPRIM_400000_NS6detail17trampoline_kernelINS0_14default_configENS1_22reduce_config_selectorIfEEZNS1_11reduce_implILb1ES3_N6thrust23THRUST_200600_302600_NS11hip_rocprim35transform_pair_of_input_iterators_tIfNS8_6detail15normal_iteratorINS8_10device_ptrIfEEEESF_8abs_diffIfEEEPffNS8_7maximumIfEEEE10hipError_tPvRmT1_T2_T3_mT4_P12ihipStream_tbEUlT_E0_NS1_11comp_targetILNS1_3genE10ELNS1_11target_archE1200ELNS1_3gpuE4ELNS1_3repE0EEENS1_30default_config_static_selectorELNS0_4arch9wavefront6targetE1EEEvSP_,"axG",@progbits,_ZN7rocprim17ROCPRIM_400000_NS6detail17trampoline_kernelINS0_14default_configENS1_22reduce_config_selectorIfEEZNS1_11reduce_implILb1ES3_N6thrust23THRUST_200600_302600_NS11hip_rocprim35transform_pair_of_input_iterators_tIfNS8_6detail15normal_iteratorINS8_10device_ptrIfEEEESF_8abs_diffIfEEEPffNS8_7maximumIfEEEE10hipError_tPvRmT1_T2_T3_mT4_P12ihipStream_tbEUlT_E0_NS1_11comp_targetILNS1_3genE10ELNS1_11target_archE1200ELNS1_3gpuE4ELNS1_3repE0EEENS1_30default_config_static_selectorELNS0_4arch9wavefront6targetE1EEEvSP_,comdat
.Lfunc_end25:
	.size	_ZN7rocprim17ROCPRIM_400000_NS6detail17trampoline_kernelINS0_14default_configENS1_22reduce_config_selectorIfEEZNS1_11reduce_implILb1ES3_N6thrust23THRUST_200600_302600_NS11hip_rocprim35transform_pair_of_input_iterators_tIfNS8_6detail15normal_iteratorINS8_10device_ptrIfEEEESF_8abs_diffIfEEEPffNS8_7maximumIfEEEE10hipError_tPvRmT1_T2_T3_mT4_P12ihipStream_tbEUlT_E0_NS1_11comp_targetILNS1_3genE10ELNS1_11target_archE1200ELNS1_3gpuE4ELNS1_3repE0EEENS1_30default_config_static_selectorELNS0_4arch9wavefront6targetE1EEEvSP_, .Lfunc_end25-_ZN7rocprim17ROCPRIM_400000_NS6detail17trampoline_kernelINS0_14default_configENS1_22reduce_config_selectorIfEEZNS1_11reduce_implILb1ES3_N6thrust23THRUST_200600_302600_NS11hip_rocprim35transform_pair_of_input_iterators_tIfNS8_6detail15normal_iteratorINS8_10device_ptrIfEEEESF_8abs_diffIfEEEPffNS8_7maximumIfEEEE10hipError_tPvRmT1_T2_T3_mT4_P12ihipStream_tbEUlT_E0_NS1_11comp_targetILNS1_3genE10ELNS1_11target_archE1200ELNS1_3gpuE4ELNS1_3repE0EEENS1_30default_config_static_selectorELNS0_4arch9wavefront6targetE1EEEvSP_
                                        ; -- End function
	.section	.AMDGPU.csdata,"",@progbits
; Kernel info:
; codeLenInByte = 0
; NumSgprs: 4
; NumVgprs: 0
; NumAgprs: 0
; TotalNumVgprs: 0
; ScratchSize: 0
; MemoryBound: 0
; FloatMode: 240
; IeeeMode: 1
; LDSByteSize: 0 bytes/workgroup (compile time only)
; SGPRBlocks: 0
; VGPRBlocks: 0
; NumSGPRsForWavesPerEU: 4
; NumVGPRsForWavesPerEU: 1
; AccumOffset: 4
; Occupancy: 8
; WaveLimiterHint : 0
; COMPUTE_PGM_RSRC2:SCRATCH_EN: 0
; COMPUTE_PGM_RSRC2:USER_SGPR: 6
; COMPUTE_PGM_RSRC2:TRAP_HANDLER: 0
; COMPUTE_PGM_RSRC2:TGID_X_EN: 1
; COMPUTE_PGM_RSRC2:TGID_Y_EN: 0
; COMPUTE_PGM_RSRC2:TGID_Z_EN: 0
; COMPUTE_PGM_RSRC2:TIDIG_COMP_CNT: 0
; COMPUTE_PGM_RSRC3_GFX90A:ACCUM_OFFSET: 0
; COMPUTE_PGM_RSRC3_GFX90A:TG_SPLIT: 0
	.section	.text._ZN7rocprim17ROCPRIM_400000_NS6detail17trampoline_kernelINS0_14default_configENS1_22reduce_config_selectorIfEEZNS1_11reduce_implILb1ES3_N6thrust23THRUST_200600_302600_NS11hip_rocprim35transform_pair_of_input_iterators_tIfNS8_6detail15normal_iteratorINS8_10device_ptrIfEEEESF_8abs_diffIfEEEPffNS8_7maximumIfEEEE10hipError_tPvRmT1_T2_T3_mT4_P12ihipStream_tbEUlT_E0_NS1_11comp_targetILNS1_3genE9ELNS1_11target_archE1100ELNS1_3gpuE3ELNS1_3repE0EEENS1_30default_config_static_selectorELNS0_4arch9wavefront6targetE1EEEvSP_,"axG",@progbits,_ZN7rocprim17ROCPRIM_400000_NS6detail17trampoline_kernelINS0_14default_configENS1_22reduce_config_selectorIfEEZNS1_11reduce_implILb1ES3_N6thrust23THRUST_200600_302600_NS11hip_rocprim35transform_pair_of_input_iterators_tIfNS8_6detail15normal_iteratorINS8_10device_ptrIfEEEESF_8abs_diffIfEEEPffNS8_7maximumIfEEEE10hipError_tPvRmT1_T2_T3_mT4_P12ihipStream_tbEUlT_E0_NS1_11comp_targetILNS1_3genE9ELNS1_11target_archE1100ELNS1_3gpuE3ELNS1_3repE0EEENS1_30default_config_static_selectorELNS0_4arch9wavefront6targetE1EEEvSP_,comdat
	.protected	_ZN7rocprim17ROCPRIM_400000_NS6detail17trampoline_kernelINS0_14default_configENS1_22reduce_config_selectorIfEEZNS1_11reduce_implILb1ES3_N6thrust23THRUST_200600_302600_NS11hip_rocprim35transform_pair_of_input_iterators_tIfNS8_6detail15normal_iteratorINS8_10device_ptrIfEEEESF_8abs_diffIfEEEPffNS8_7maximumIfEEEE10hipError_tPvRmT1_T2_T3_mT4_P12ihipStream_tbEUlT_E0_NS1_11comp_targetILNS1_3genE9ELNS1_11target_archE1100ELNS1_3gpuE3ELNS1_3repE0EEENS1_30default_config_static_selectorELNS0_4arch9wavefront6targetE1EEEvSP_ ; -- Begin function _ZN7rocprim17ROCPRIM_400000_NS6detail17trampoline_kernelINS0_14default_configENS1_22reduce_config_selectorIfEEZNS1_11reduce_implILb1ES3_N6thrust23THRUST_200600_302600_NS11hip_rocprim35transform_pair_of_input_iterators_tIfNS8_6detail15normal_iteratorINS8_10device_ptrIfEEEESF_8abs_diffIfEEEPffNS8_7maximumIfEEEE10hipError_tPvRmT1_T2_T3_mT4_P12ihipStream_tbEUlT_E0_NS1_11comp_targetILNS1_3genE9ELNS1_11target_archE1100ELNS1_3gpuE3ELNS1_3repE0EEENS1_30default_config_static_selectorELNS0_4arch9wavefront6targetE1EEEvSP_
	.globl	_ZN7rocprim17ROCPRIM_400000_NS6detail17trampoline_kernelINS0_14default_configENS1_22reduce_config_selectorIfEEZNS1_11reduce_implILb1ES3_N6thrust23THRUST_200600_302600_NS11hip_rocprim35transform_pair_of_input_iterators_tIfNS8_6detail15normal_iteratorINS8_10device_ptrIfEEEESF_8abs_diffIfEEEPffNS8_7maximumIfEEEE10hipError_tPvRmT1_T2_T3_mT4_P12ihipStream_tbEUlT_E0_NS1_11comp_targetILNS1_3genE9ELNS1_11target_archE1100ELNS1_3gpuE3ELNS1_3repE0EEENS1_30default_config_static_selectorELNS0_4arch9wavefront6targetE1EEEvSP_
	.p2align	8
	.type	_ZN7rocprim17ROCPRIM_400000_NS6detail17trampoline_kernelINS0_14default_configENS1_22reduce_config_selectorIfEEZNS1_11reduce_implILb1ES3_N6thrust23THRUST_200600_302600_NS11hip_rocprim35transform_pair_of_input_iterators_tIfNS8_6detail15normal_iteratorINS8_10device_ptrIfEEEESF_8abs_diffIfEEEPffNS8_7maximumIfEEEE10hipError_tPvRmT1_T2_T3_mT4_P12ihipStream_tbEUlT_E0_NS1_11comp_targetILNS1_3genE9ELNS1_11target_archE1100ELNS1_3gpuE3ELNS1_3repE0EEENS1_30default_config_static_selectorELNS0_4arch9wavefront6targetE1EEEvSP_,@function
_ZN7rocprim17ROCPRIM_400000_NS6detail17trampoline_kernelINS0_14default_configENS1_22reduce_config_selectorIfEEZNS1_11reduce_implILb1ES3_N6thrust23THRUST_200600_302600_NS11hip_rocprim35transform_pair_of_input_iterators_tIfNS8_6detail15normal_iteratorINS8_10device_ptrIfEEEESF_8abs_diffIfEEEPffNS8_7maximumIfEEEE10hipError_tPvRmT1_T2_T3_mT4_P12ihipStream_tbEUlT_E0_NS1_11comp_targetILNS1_3genE9ELNS1_11target_archE1100ELNS1_3gpuE3ELNS1_3repE0EEENS1_30default_config_static_selectorELNS0_4arch9wavefront6targetE1EEEvSP_: ; @_ZN7rocprim17ROCPRIM_400000_NS6detail17trampoline_kernelINS0_14default_configENS1_22reduce_config_selectorIfEEZNS1_11reduce_implILb1ES3_N6thrust23THRUST_200600_302600_NS11hip_rocprim35transform_pair_of_input_iterators_tIfNS8_6detail15normal_iteratorINS8_10device_ptrIfEEEESF_8abs_diffIfEEEPffNS8_7maximumIfEEEE10hipError_tPvRmT1_T2_T3_mT4_P12ihipStream_tbEUlT_E0_NS1_11comp_targetILNS1_3genE9ELNS1_11target_archE1100ELNS1_3gpuE3ELNS1_3repE0EEENS1_30default_config_static_selectorELNS0_4arch9wavefront6targetE1EEEvSP_
; %bb.0:
	.section	.rodata,"a",@progbits
	.p2align	6, 0x0
	.amdhsa_kernel _ZN7rocprim17ROCPRIM_400000_NS6detail17trampoline_kernelINS0_14default_configENS1_22reduce_config_selectorIfEEZNS1_11reduce_implILb1ES3_N6thrust23THRUST_200600_302600_NS11hip_rocprim35transform_pair_of_input_iterators_tIfNS8_6detail15normal_iteratorINS8_10device_ptrIfEEEESF_8abs_diffIfEEEPffNS8_7maximumIfEEEE10hipError_tPvRmT1_T2_T3_mT4_P12ihipStream_tbEUlT_E0_NS1_11comp_targetILNS1_3genE9ELNS1_11target_archE1100ELNS1_3gpuE3ELNS1_3repE0EEENS1_30default_config_static_selectorELNS0_4arch9wavefront6targetE1EEEvSP_
		.amdhsa_group_segment_fixed_size 0
		.amdhsa_private_segment_fixed_size 0
		.amdhsa_kernarg_size 72
		.amdhsa_user_sgpr_count 6
		.amdhsa_user_sgpr_private_segment_buffer 1
		.amdhsa_user_sgpr_dispatch_ptr 0
		.amdhsa_user_sgpr_queue_ptr 0
		.amdhsa_user_sgpr_kernarg_segment_ptr 1
		.amdhsa_user_sgpr_dispatch_id 0
		.amdhsa_user_sgpr_flat_scratch_init 0
		.amdhsa_user_sgpr_kernarg_preload_length 0
		.amdhsa_user_sgpr_kernarg_preload_offset 0
		.amdhsa_user_sgpr_private_segment_size 0
		.amdhsa_uses_dynamic_stack 0
		.amdhsa_system_sgpr_private_segment_wavefront_offset 0
		.amdhsa_system_sgpr_workgroup_id_x 1
		.amdhsa_system_sgpr_workgroup_id_y 0
		.amdhsa_system_sgpr_workgroup_id_z 0
		.amdhsa_system_sgpr_workgroup_info 0
		.amdhsa_system_vgpr_workitem_id 0
		.amdhsa_next_free_vgpr 1
		.amdhsa_next_free_sgpr 0
		.amdhsa_accum_offset 4
		.amdhsa_reserve_vcc 0
		.amdhsa_reserve_flat_scratch 0
		.amdhsa_float_round_mode_32 0
		.amdhsa_float_round_mode_16_64 0
		.amdhsa_float_denorm_mode_32 3
		.amdhsa_float_denorm_mode_16_64 3
		.amdhsa_dx10_clamp 1
		.amdhsa_ieee_mode 1
		.amdhsa_fp16_overflow 0
		.amdhsa_tg_split 0
		.amdhsa_exception_fp_ieee_invalid_op 0
		.amdhsa_exception_fp_denorm_src 0
		.amdhsa_exception_fp_ieee_div_zero 0
		.amdhsa_exception_fp_ieee_overflow 0
		.amdhsa_exception_fp_ieee_underflow 0
		.amdhsa_exception_fp_ieee_inexact 0
		.amdhsa_exception_int_div_zero 0
	.end_amdhsa_kernel
	.section	.text._ZN7rocprim17ROCPRIM_400000_NS6detail17trampoline_kernelINS0_14default_configENS1_22reduce_config_selectorIfEEZNS1_11reduce_implILb1ES3_N6thrust23THRUST_200600_302600_NS11hip_rocprim35transform_pair_of_input_iterators_tIfNS8_6detail15normal_iteratorINS8_10device_ptrIfEEEESF_8abs_diffIfEEEPffNS8_7maximumIfEEEE10hipError_tPvRmT1_T2_T3_mT4_P12ihipStream_tbEUlT_E0_NS1_11comp_targetILNS1_3genE9ELNS1_11target_archE1100ELNS1_3gpuE3ELNS1_3repE0EEENS1_30default_config_static_selectorELNS0_4arch9wavefront6targetE1EEEvSP_,"axG",@progbits,_ZN7rocprim17ROCPRIM_400000_NS6detail17trampoline_kernelINS0_14default_configENS1_22reduce_config_selectorIfEEZNS1_11reduce_implILb1ES3_N6thrust23THRUST_200600_302600_NS11hip_rocprim35transform_pair_of_input_iterators_tIfNS8_6detail15normal_iteratorINS8_10device_ptrIfEEEESF_8abs_diffIfEEEPffNS8_7maximumIfEEEE10hipError_tPvRmT1_T2_T3_mT4_P12ihipStream_tbEUlT_E0_NS1_11comp_targetILNS1_3genE9ELNS1_11target_archE1100ELNS1_3gpuE3ELNS1_3repE0EEENS1_30default_config_static_selectorELNS0_4arch9wavefront6targetE1EEEvSP_,comdat
.Lfunc_end26:
	.size	_ZN7rocprim17ROCPRIM_400000_NS6detail17trampoline_kernelINS0_14default_configENS1_22reduce_config_selectorIfEEZNS1_11reduce_implILb1ES3_N6thrust23THRUST_200600_302600_NS11hip_rocprim35transform_pair_of_input_iterators_tIfNS8_6detail15normal_iteratorINS8_10device_ptrIfEEEESF_8abs_diffIfEEEPffNS8_7maximumIfEEEE10hipError_tPvRmT1_T2_T3_mT4_P12ihipStream_tbEUlT_E0_NS1_11comp_targetILNS1_3genE9ELNS1_11target_archE1100ELNS1_3gpuE3ELNS1_3repE0EEENS1_30default_config_static_selectorELNS0_4arch9wavefront6targetE1EEEvSP_, .Lfunc_end26-_ZN7rocprim17ROCPRIM_400000_NS6detail17trampoline_kernelINS0_14default_configENS1_22reduce_config_selectorIfEEZNS1_11reduce_implILb1ES3_N6thrust23THRUST_200600_302600_NS11hip_rocprim35transform_pair_of_input_iterators_tIfNS8_6detail15normal_iteratorINS8_10device_ptrIfEEEESF_8abs_diffIfEEEPffNS8_7maximumIfEEEE10hipError_tPvRmT1_T2_T3_mT4_P12ihipStream_tbEUlT_E0_NS1_11comp_targetILNS1_3genE9ELNS1_11target_archE1100ELNS1_3gpuE3ELNS1_3repE0EEENS1_30default_config_static_selectorELNS0_4arch9wavefront6targetE1EEEvSP_
                                        ; -- End function
	.section	.AMDGPU.csdata,"",@progbits
; Kernel info:
; codeLenInByte = 0
; NumSgprs: 4
; NumVgprs: 0
; NumAgprs: 0
; TotalNumVgprs: 0
; ScratchSize: 0
; MemoryBound: 0
; FloatMode: 240
; IeeeMode: 1
; LDSByteSize: 0 bytes/workgroup (compile time only)
; SGPRBlocks: 0
; VGPRBlocks: 0
; NumSGPRsForWavesPerEU: 4
; NumVGPRsForWavesPerEU: 1
; AccumOffset: 4
; Occupancy: 8
; WaveLimiterHint : 0
; COMPUTE_PGM_RSRC2:SCRATCH_EN: 0
; COMPUTE_PGM_RSRC2:USER_SGPR: 6
; COMPUTE_PGM_RSRC2:TRAP_HANDLER: 0
; COMPUTE_PGM_RSRC2:TGID_X_EN: 1
; COMPUTE_PGM_RSRC2:TGID_Y_EN: 0
; COMPUTE_PGM_RSRC2:TGID_Z_EN: 0
; COMPUTE_PGM_RSRC2:TIDIG_COMP_CNT: 0
; COMPUTE_PGM_RSRC3_GFX90A:ACCUM_OFFSET: 0
; COMPUTE_PGM_RSRC3_GFX90A:TG_SPLIT: 0
	.section	.text._ZN7rocprim17ROCPRIM_400000_NS6detail17trampoline_kernelINS0_14default_configENS1_22reduce_config_selectorIfEEZNS1_11reduce_implILb1ES3_N6thrust23THRUST_200600_302600_NS11hip_rocprim35transform_pair_of_input_iterators_tIfNS8_6detail15normal_iteratorINS8_10device_ptrIfEEEESF_8abs_diffIfEEEPffNS8_7maximumIfEEEE10hipError_tPvRmT1_T2_T3_mT4_P12ihipStream_tbEUlT_E0_NS1_11comp_targetILNS1_3genE8ELNS1_11target_archE1030ELNS1_3gpuE2ELNS1_3repE0EEENS1_30default_config_static_selectorELNS0_4arch9wavefront6targetE1EEEvSP_,"axG",@progbits,_ZN7rocprim17ROCPRIM_400000_NS6detail17trampoline_kernelINS0_14default_configENS1_22reduce_config_selectorIfEEZNS1_11reduce_implILb1ES3_N6thrust23THRUST_200600_302600_NS11hip_rocprim35transform_pair_of_input_iterators_tIfNS8_6detail15normal_iteratorINS8_10device_ptrIfEEEESF_8abs_diffIfEEEPffNS8_7maximumIfEEEE10hipError_tPvRmT1_T2_T3_mT4_P12ihipStream_tbEUlT_E0_NS1_11comp_targetILNS1_3genE8ELNS1_11target_archE1030ELNS1_3gpuE2ELNS1_3repE0EEENS1_30default_config_static_selectorELNS0_4arch9wavefront6targetE1EEEvSP_,comdat
	.protected	_ZN7rocprim17ROCPRIM_400000_NS6detail17trampoline_kernelINS0_14default_configENS1_22reduce_config_selectorIfEEZNS1_11reduce_implILb1ES3_N6thrust23THRUST_200600_302600_NS11hip_rocprim35transform_pair_of_input_iterators_tIfNS8_6detail15normal_iteratorINS8_10device_ptrIfEEEESF_8abs_diffIfEEEPffNS8_7maximumIfEEEE10hipError_tPvRmT1_T2_T3_mT4_P12ihipStream_tbEUlT_E0_NS1_11comp_targetILNS1_3genE8ELNS1_11target_archE1030ELNS1_3gpuE2ELNS1_3repE0EEENS1_30default_config_static_selectorELNS0_4arch9wavefront6targetE1EEEvSP_ ; -- Begin function _ZN7rocprim17ROCPRIM_400000_NS6detail17trampoline_kernelINS0_14default_configENS1_22reduce_config_selectorIfEEZNS1_11reduce_implILb1ES3_N6thrust23THRUST_200600_302600_NS11hip_rocprim35transform_pair_of_input_iterators_tIfNS8_6detail15normal_iteratorINS8_10device_ptrIfEEEESF_8abs_diffIfEEEPffNS8_7maximumIfEEEE10hipError_tPvRmT1_T2_T3_mT4_P12ihipStream_tbEUlT_E0_NS1_11comp_targetILNS1_3genE8ELNS1_11target_archE1030ELNS1_3gpuE2ELNS1_3repE0EEENS1_30default_config_static_selectorELNS0_4arch9wavefront6targetE1EEEvSP_
	.globl	_ZN7rocprim17ROCPRIM_400000_NS6detail17trampoline_kernelINS0_14default_configENS1_22reduce_config_selectorIfEEZNS1_11reduce_implILb1ES3_N6thrust23THRUST_200600_302600_NS11hip_rocprim35transform_pair_of_input_iterators_tIfNS8_6detail15normal_iteratorINS8_10device_ptrIfEEEESF_8abs_diffIfEEEPffNS8_7maximumIfEEEE10hipError_tPvRmT1_T2_T3_mT4_P12ihipStream_tbEUlT_E0_NS1_11comp_targetILNS1_3genE8ELNS1_11target_archE1030ELNS1_3gpuE2ELNS1_3repE0EEENS1_30default_config_static_selectorELNS0_4arch9wavefront6targetE1EEEvSP_
	.p2align	8
	.type	_ZN7rocprim17ROCPRIM_400000_NS6detail17trampoline_kernelINS0_14default_configENS1_22reduce_config_selectorIfEEZNS1_11reduce_implILb1ES3_N6thrust23THRUST_200600_302600_NS11hip_rocprim35transform_pair_of_input_iterators_tIfNS8_6detail15normal_iteratorINS8_10device_ptrIfEEEESF_8abs_diffIfEEEPffNS8_7maximumIfEEEE10hipError_tPvRmT1_T2_T3_mT4_P12ihipStream_tbEUlT_E0_NS1_11comp_targetILNS1_3genE8ELNS1_11target_archE1030ELNS1_3gpuE2ELNS1_3repE0EEENS1_30default_config_static_selectorELNS0_4arch9wavefront6targetE1EEEvSP_,@function
_ZN7rocprim17ROCPRIM_400000_NS6detail17trampoline_kernelINS0_14default_configENS1_22reduce_config_selectorIfEEZNS1_11reduce_implILb1ES3_N6thrust23THRUST_200600_302600_NS11hip_rocprim35transform_pair_of_input_iterators_tIfNS8_6detail15normal_iteratorINS8_10device_ptrIfEEEESF_8abs_diffIfEEEPffNS8_7maximumIfEEEE10hipError_tPvRmT1_T2_T3_mT4_P12ihipStream_tbEUlT_E0_NS1_11comp_targetILNS1_3genE8ELNS1_11target_archE1030ELNS1_3gpuE2ELNS1_3repE0EEENS1_30default_config_static_selectorELNS0_4arch9wavefront6targetE1EEEvSP_: ; @_ZN7rocprim17ROCPRIM_400000_NS6detail17trampoline_kernelINS0_14default_configENS1_22reduce_config_selectorIfEEZNS1_11reduce_implILb1ES3_N6thrust23THRUST_200600_302600_NS11hip_rocprim35transform_pair_of_input_iterators_tIfNS8_6detail15normal_iteratorINS8_10device_ptrIfEEEESF_8abs_diffIfEEEPffNS8_7maximumIfEEEE10hipError_tPvRmT1_T2_T3_mT4_P12ihipStream_tbEUlT_E0_NS1_11comp_targetILNS1_3genE8ELNS1_11target_archE1030ELNS1_3gpuE2ELNS1_3repE0EEENS1_30default_config_static_selectorELNS0_4arch9wavefront6targetE1EEEvSP_
; %bb.0:
	.section	.rodata,"a",@progbits
	.p2align	6, 0x0
	.amdhsa_kernel _ZN7rocprim17ROCPRIM_400000_NS6detail17trampoline_kernelINS0_14default_configENS1_22reduce_config_selectorIfEEZNS1_11reduce_implILb1ES3_N6thrust23THRUST_200600_302600_NS11hip_rocprim35transform_pair_of_input_iterators_tIfNS8_6detail15normal_iteratorINS8_10device_ptrIfEEEESF_8abs_diffIfEEEPffNS8_7maximumIfEEEE10hipError_tPvRmT1_T2_T3_mT4_P12ihipStream_tbEUlT_E0_NS1_11comp_targetILNS1_3genE8ELNS1_11target_archE1030ELNS1_3gpuE2ELNS1_3repE0EEENS1_30default_config_static_selectorELNS0_4arch9wavefront6targetE1EEEvSP_
		.amdhsa_group_segment_fixed_size 0
		.amdhsa_private_segment_fixed_size 0
		.amdhsa_kernarg_size 72
		.amdhsa_user_sgpr_count 6
		.amdhsa_user_sgpr_private_segment_buffer 1
		.amdhsa_user_sgpr_dispatch_ptr 0
		.amdhsa_user_sgpr_queue_ptr 0
		.amdhsa_user_sgpr_kernarg_segment_ptr 1
		.amdhsa_user_sgpr_dispatch_id 0
		.amdhsa_user_sgpr_flat_scratch_init 0
		.amdhsa_user_sgpr_kernarg_preload_length 0
		.amdhsa_user_sgpr_kernarg_preload_offset 0
		.amdhsa_user_sgpr_private_segment_size 0
		.amdhsa_uses_dynamic_stack 0
		.amdhsa_system_sgpr_private_segment_wavefront_offset 0
		.amdhsa_system_sgpr_workgroup_id_x 1
		.amdhsa_system_sgpr_workgroup_id_y 0
		.amdhsa_system_sgpr_workgroup_id_z 0
		.amdhsa_system_sgpr_workgroup_info 0
		.amdhsa_system_vgpr_workitem_id 0
		.amdhsa_next_free_vgpr 1
		.amdhsa_next_free_sgpr 0
		.amdhsa_accum_offset 4
		.amdhsa_reserve_vcc 0
		.amdhsa_reserve_flat_scratch 0
		.amdhsa_float_round_mode_32 0
		.amdhsa_float_round_mode_16_64 0
		.amdhsa_float_denorm_mode_32 3
		.amdhsa_float_denorm_mode_16_64 3
		.amdhsa_dx10_clamp 1
		.amdhsa_ieee_mode 1
		.amdhsa_fp16_overflow 0
		.amdhsa_tg_split 0
		.amdhsa_exception_fp_ieee_invalid_op 0
		.amdhsa_exception_fp_denorm_src 0
		.amdhsa_exception_fp_ieee_div_zero 0
		.amdhsa_exception_fp_ieee_overflow 0
		.amdhsa_exception_fp_ieee_underflow 0
		.amdhsa_exception_fp_ieee_inexact 0
		.amdhsa_exception_int_div_zero 0
	.end_amdhsa_kernel
	.section	.text._ZN7rocprim17ROCPRIM_400000_NS6detail17trampoline_kernelINS0_14default_configENS1_22reduce_config_selectorIfEEZNS1_11reduce_implILb1ES3_N6thrust23THRUST_200600_302600_NS11hip_rocprim35transform_pair_of_input_iterators_tIfNS8_6detail15normal_iteratorINS8_10device_ptrIfEEEESF_8abs_diffIfEEEPffNS8_7maximumIfEEEE10hipError_tPvRmT1_T2_T3_mT4_P12ihipStream_tbEUlT_E0_NS1_11comp_targetILNS1_3genE8ELNS1_11target_archE1030ELNS1_3gpuE2ELNS1_3repE0EEENS1_30default_config_static_selectorELNS0_4arch9wavefront6targetE1EEEvSP_,"axG",@progbits,_ZN7rocprim17ROCPRIM_400000_NS6detail17trampoline_kernelINS0_14default_configENS1_22reduce_config_selectorIfEEZNS1_11reduce_implILb1ES3_N6thrust23THRUST_200600_302600_NS11hip_rocprim35transform_pair_of_input_iterators_tIfNS8_6detail15normal_iteratorINS8_10device_ptrIfEEEESF_8abs_diffIfEEEPffNS8_7maximumIfEEEE10hipError_tPvRmT1_T2_T3_mT4_P12ihipStream_tbEUlT_E0_NS1_11comp_targetILNS1_3genE8ELNS1_11target_archE1030ELNS1_3gpuE2ELNS1_3repE0EEENS1_30default_config_static_selectorELNS0_4arch9wavefront6targetE1EEEvSP_,comdat
.Lfunc_end27:
	.size	_ZN7rocprim17ROCPRIM_400000_NS6detail17trampoline_kernelINS0_14default_configENS1_22reduce_config_selectorIfEEZNS1_11reduce_implILb1ES3_N6thrust23THRUST_200600_302600_NS11hip_rocprim35transform_pair_of_input_iterators_tIfNS8_6detail15normal_iteratorINS8_10device_ptrIfEEEESF_8abs_diffIfEEEPffNS8_7maximumIfEEEE10hipError_tPvRmT1_T2_T3_mT4_P12ihipStream_tbEUlT_E0_NS1_11comp_targetILNS1_3genE8ELNS1_11target_archE1030ELNS1_3gpuE2ELNS1_3repE0EEENS1_30default_config_static_selectorELNS0_4arch9wavefront6targetE1EEEvSP_, .Lfunc_end27-_ZN7rocprim17ROCPRIM_400000_NS6detail17trampoline_kernelINS0_14default_configENS1_22reduce_config_selectorIfEEZNS1_11reduce_implILb1ES3_N6thrust23THRUST_200600_302600_NS11hip_rocprim35transform_pair_of_input_iterators_tIfNS8_6detail15normal_iteratorINS8_10device_ptrIfEEEESF_8abs_diffIfEEEPffNS8_7maximumIfEEEE10hipError_tPvRmT1_T2_T3_mT4_P12ihipStream_tbEUlT_E0_NS1_11comp_targetILNS1_3genE8ELNS1_11target_archE1030ELNS1_3gpuE2ELNS1_3repE0EEENS1_30default_config_static_selectorELNS0_4arch9wavefront6targetE1EEEvSP_
                                        ; -- End function
	.section	.AMDGPU.csdata,"",@progbits
; Kernel info:
; codeLenInByte = 0
; NumSgprs: 4
; NumVgprs: 0
; NumAgprs: 0
; TotalNumVgprs: 0
; ScratchSize: 0
; MemoryBound: 0
; FloatMode: 240
; IeeeMode: 1
; LDSByteSize: 0 bytes/workgroup (compile time only)
; SGPRBlocks: 0
; VGPRBlocks: 0
; NumSGPRsForWavesPerEU: 4
; NumVGPRsForWavesPerEU: 1
; AccumOffset: 4
; Occupancy: 8
; WaveLimiterHint : 0
; COMPUTE_PGM_RSRC2:SCRATCH_EN: 0
; COMPUTE_PGM_RSRC2:USER_SGPR: 6
; COMPUTE_PGM_RSRC2:TRAP_HANDLER: 0
; COMPUTE_PGM_RSRC2:TGID_X_EN: 1
; COMPUTE_PGM_RSRC2:TGID_Y_EN: 0
; COMPUTE_PGM_RSRC2:TGID_Z_EN: 0
; COMPUTE_PGM_RSRC2:TIDIG_COMP_CNT: 0
; COMPUTE_PGM_RSRC3_GFX90A:ACCUM_OFFSET: 0
; COMPUTE_PGM_RSRC3_GFX90A:TG_SPLIT: 0
	.section	.text._ZN7rocprim17ROCPRIM_400000_NS6detail17trampoline_kernelINS0_14default_configENS1_22reduce_config_selectorIfEEZNS1_11reduce_implILb1ES3_N6thrust23THRUST_200600_302600_NS11hip_rocprim35transform_pair_of_input_iterators_tIfNS8_6detail15normal_iteratorINS8_10device_ptrIfEEEESF_8abs_diffIfEEEPffNS8_7maximumIfEEEE10hipError_tPvRmT1_T2_T3_mT4_P12ihipStream_tbEUlT_E1_NS1_11comp_targetILNS1_3genE0ELNS1_11target_archE4294967295ELNS1_3gpuE0ELNS1_3repE0EEENS1_30default_config_static_selectorELNS0_4arch9wavefront6targetE1EEEvSP_,"axG",@progbits,_ZN7rocprim17ROCPRIM_400000_NS6detail17trampoline_kernelINS0_14default_configENS1_22reduce_config_selectorIfEEZNS1_11reduce_implILb1ES3_N6thrust23THRUST_200600_302600_NS11hip_rocprim35transform_pair_of_input_iterators_tIfNS8_6detail15normal_iteratorINS8_10device_ptrIfEEEESF_8abs_diffIfEEEPffNS8_7maximumIfEEEE10hipError_tPvRmT1_T2_T3_mT4_P12ihipStream_tbEUlT_E1_NS1_11comp_targetILNS1_3genE0ELNS1_11target_archE4294967295ELNS1_3gpuE0ELNS1_3repE0EEENS1_30default_config_static_selectorELNS0_4arch9wavefront6targetE1EEEvSP_,comdat
	.protected	_ZN7rocprim17ROCPRIM_400000_NS6detail17trampoline_kernelINS0_14default_configENS1_22reduce_config_selectorIfEEZNS1_11reduce_implILb1ES3_N6thrust23THRUST_200600_302600_NS11hip_rocprim35transform_pair_of_input_iterators_tIfNS8_6detail15normal_iteratorINS8_10device_ptrIfEEEESF_8abs_diffIfEEEPffNS8_7maximumIfEEEE10hipError_tPvRmT1_T2_T3_mT4_P12ihipStream_tbEUlT_E1_NS1_11comp_targetILNS1_3genE0ELNS1_11target_archE4294967295ELNS1_3gpuE0ELNS1_3repE0EEENS1_30default_config_static_selectorELNS0_4arch9wavefront6targetE1EEEvSP_ ; -- Begin function _ZN7rocprim17ROCPRIM_400000_NS6detail17trampoline_kernelINS0_14default_configENS1_22reduce_config_selectorIfEEZNS1_11reduce_implILb1ES3_N6thrust23THRUST_200600_302600_NS11hip_rocprim35transform_pair_of_input_iterators_tIfNS8_6detail15normal_iteratorINS8_10device_ptrIfEEEESF_8abs_diffIfEEEPffNS8_7maximumIfEEEE10hipError_tPvRmT1_T2_T3_mT4_P12ihipStream_tbEUlT_E1_NS1_11comp_targetILNS1_3genE0ELNS1_11target_archE4294967295ELNS1_3gpuE0ELNS1_3repE0EEENS1_30default_config_static_selectorELNS0_4arch9wavefront6targetE1EEEvSP_
	.globl	_ZN7rocprim17ROCPRIM_400000_NS6detail17trampoline_kernelINS0_14default_configENS1_22reduce_config_selectorIfEEZNS1_11reduce_implILb1ES3_N6thrust23THRUST_200600_302600_NS11hip_rocprim35transform_pair_of_input_iterators_tIfNS8_6detail15normal_iteratorINS8_10device_ptrIfEEEESF_8abs_diffIfEEEPffNS8_7maximumIfEEEE10hipError_tPvRmT1_T2_T3_mT4_P12ihipStream_tbEUlT_E1_NS1_11comp_targetILNS1_3genE0ELNS1_11target_archE4294967295ELNS1_3gpuE0ELNS1_3repE0EEENS1_30default_config_static_selectorELNS0_4arch9wavefront6targetE1EEEvSP_
	.p2align	8
	.type	_ZN7rocprim17ROCPRIM_400000_NS6detail17trampoline_kernelINS0_14default_configENS1_22reduce_config_selectorIfEEZNS1_11reduce_implILb1ES3_N6thrust23THRUST_200600_302600_NS11hip_rocprim35transform_pair_of_input_iterators_tIfNS8_6detail15normal_iteratorINS8_10device_ptrIfEEEESF_8abs_diffIfEEEPffNS8_7maximumIfEEEE10hipError_tPvRmT1_T2_T3_mT4_P12ihipStream_tbEUlT_E1_NS1_11comp_targetILNS1_3genE0ELNS1_11target_archE4294967295ELNS1_3gpuE0ELNS1_3repE0EEENS1_30default_config_static_selectorELNS0_4arch9wavefront6targetE1EEEvSP_,@function
_ZN7rocprim17ROCPRIM_400000_NS6detail17trampoline_kernelINS0_14default_configENS1_22reduce_config_selectorIfEEZNS1_11reduce_implILb1ES3_N6thrust23THRUST_200600_302600_NS11hip_rocprim35transform_pair_of_input_iterators_tIfNS8_6detail15normal_iteratorINS8_10device_ptrIfEEEESF_8abs_diffIfEEEPffNS8_7maximumIfEEEE10hipError_tPvRmT1_T2_T3_mT4_P12ihipStream_tbEUlT_E1_NS1_11comp_targetILNS1_3genE0ELNS1_11target_archE4294967295ELNS1_3gpuE0ELNS1_3repE0EEENS1_30default_config_static_selectorELNS0_4arch9wavefront6targetE1EEEvSP_: ; @_ZN7rocprim17ROCPRIM_400000_NS6detail17trampoline_kernelINS0_14default_configENS1_22reduce_config_selectorIfEEZNS1_11reduce_implILb1ES3_N6thrust23THRUST_200600_302600_NS11hip_rocprim35transform_pair_of_input_iterators_tIfNS8_6detail15normal_iteratorINS8_10device_ptrIfEEEESF_8abs_diffIfEEEPffNS8_7maximumIfEEEE10hipError_tPvRmT1_T2_T3_mT4_P12ihipStream_tbEUlT_E1_NS1_11comp_targetILNS1_3genE0ELNS1_11target_archE4294967295ELNS1_3gpuE0ELNS1_3repE0EEENS1_30default_config_static_selectorELNS0_4arch9wavefront6targetE1EEEvSP_
; %bb.0:
	.section	.rodata,"a",@progbits
	.p2align	6, 0x0
	.amdhsa_kernel _ZN7rocprim17ROCPRIM_400000_NS6detail17trampoline_kernelINS0_14default_configENS1_22reduce_config_selectorIfEEZNS1_11reduce_implILb1ES3_N6thrust23THRUST_200600_302600_NS11hip_rocprim35transform_pair_of_input_iterators_tIfNS8_6detail15normal_iteratorINS8_10device_ptrIfEEEESF_8abs_diffIfEEEPffNS8_7maximumIfEEEE10hipError_tPvRmT1_T2_T3_mT4_P12ihipStream_tbEUlT_E1_NS1_11comp_targetILNS1_3genE0ELNS1_11target_archE4294967295ELNS1_3gpuE0ELNS1_3repE0EEENS1_30default_config_static_selectorELNS0_4arch9wavefront6targetE1EEEvSP_
		.amdhsa_group_segment_fixed_size 0
		.amdhsa_private_segment_fixed_size 0
		.amdhsa_kernarg_size 56
		.amdhsa_user_sgpr_count 6
		.amdhsa_user_sgpr_private_segment_buffer 1
		.amdhsa_user_sgpr_dispatch_ptr 0
		.amdhsa_user_sgpr_queue_ptr 0
		.amdhsa_user_sgpr_kernarg_segment_ptr 1
		.amdhsa_user_sgpr_dispatch_id 0
		.amdhsa_user_sgpr_flat_scratch_init 0
		.amdhsa_user_sgpr_kernarg_preload_length 0
		.amdhsa_user_sgpr_kernarg_preload_offset 0
		.amdhsa_user_sgpr_private_segment_size 0
		.amdhsa_uses_dynamic_stack 0
		.amdhsa_system_sgpr_private_segment_wavefront_offset 0
		.amdhsa_system_sgpr_workgroup_id_x 1
		.amdhsa_system_sgpr_workgroup_id_y 0
		.amdhsa_system_sgpr_workgroup_id_z 0
		.amdhsa_system_sgpr_workgroup_info 0
		.amdhsa_system_vgpr_workitem_id 0
		.amdhsa_next_free_vgpr 1
		.amdhsa_next_free_sgpr 0
		.amdhsa_accum_offset 4
		.amdhsa_reserve_vcc 0
		.amdhsa_reserve_flat_scratch 0
		.amdhsa_float_round_mode_32 0
		.amdhsa_float_round_mode_16_64 0
		.amdhsa_float_denorm_mode_32 3
		.amdhsa_float_denorm_mode_16_64 3
		.amdhsa_dx10_clamp 1
		.amdhsa_ieee_mode 1
		.amdhsa_fp16_overflow 0
		.amdhsa_tg_split 0
		.amdhsa_exception_fp_ieee_invalid_op 0
		.amdhsa_exception_fp_denorm_src 0
		.amdhsa_exception_fp_ieee_div_zero 0
		.amdhsa_exception_fp_ieee_overflow 0
		.amdhsa_exception_fp_ieee_underflow 0
		.amdhsa_exception_fp_ieee_inexact 0
		.amdhsa_exception_int_div_zero 0
	.end_amdhsa_kernel
	.section	.text._ZN7rocprim17ROCPRIM_400000_NS6detail17trampoline_kernelINS0_14default_configENS1_22reduce_config_selectorIfEEZNS1_11reduce_implILb1ES3_N6thrust23THRUST_200600_302600_NS11hip_rocprim35transform_pair_of_input_iterators_tIfNS8_6detail15normal_iteratorINS8_10device_ptrIfEEEESF_8abs_diffIfEEEPffNS8_7maximumIfEEEE10hipError_tPvRmT1_T2_T3_mT4_P12ihipStream_tbEUlT_E1_NS1_11comp_targetILNS1_3genE0ELNS1_11target_archE4294967295ELNS1_3gpuE0ELNS1_3repE0EEENS1_30default_config_static_selectorELNS0_4arch9wavefront6targetE1EEEvSP_,"axG",@progbits,_ZN7rocprim17ROCPRIM_400000_NS6detail17trampoline_kernelINS0_14default_configENS1_22reduce_config_selectorIfEEZNS1_11reduce_implILb1ES3_N6thrust23THRUST_200600_302600_NS11hip_rocprim35transform_pair_of_input_iterators_tIfNS8_6detail15normal_iteratorINS8_10device_ptrIfEEEESF_8abs_diffIfEEEPffNS8_7maximumIfEEEE10hipError_tPvRmT1_T2_T3_mT4_P12ihipStream_tbEUlT_E1_NS1_11comp_targetILNS1_3genE0ELNS1_11target_archE4294967295ELNS1_3gpuE0ELNS1_3repE0EEENS1_30default_config_static_selectorELNS0_4arch9wavefront6targetE1EEEvSP_,comdat
.Lfunc_end28:
	.size	_ZN7rocprim17ROCPRIM_400000_NS6detail17trampoline_kernelINS0_14default_configENS1_22reduce_config_selectorIfEEZNS1_11reduce_implILb1ES3_N6thrust23THRUST_200600_302600_NS11hip_rocprim35transform_pair_of_input_iterators_tIfNS8_6detail15normal_iteratorINS8_10device_ptrIfEEEESF_8abs_diffIfEEEPffNS8_7maximumIfEEEE10hipError_tPvRmT1_T2_T3_mT4_P12ihipStream_tbEUlT_E1_NS1_11comp_targetILNS1_3genE0ELNS1_11target_archE4294967295ELNS1_3gpuE0ELNS1_3repE0EEENS1_30default_config_static_selectorELNS0_4arch9wavefront6targetE1EEEvSP_, .Lfunc_end28-_ZN7rocprim17ROCPRIM_400000_NS6detail17trampoline_kernelINS0_14default_configENS1_22reduce_config_selectorIfEEZNS1_11reduce_implILb1ES3_N6thrust23THRUST_200600_302600_NS11hip_rocprim35transform_pair_of_input_iterators_tIfNS8_6detail15normal_iteratorINS8_10device_ptrIfEEEESF_8abs_diffIfEEEPffNS8_7maximumIfEEEE10hipError_tPvRmT1_T2_T3_mT4_P12ihipStream_tbEUlT_E1_NS1_11comp_targetILNS1_3genE0ELNS1_11target_archE4294967295ELNS1_3gpuE0ELNS1_3repE0EEENS1_30default_config_static_selectorELNS0_4arch9wavefront6targetE1EEEvSP_
                                        ; -- End function
	.section	.AMDGPU.csdata,"",@progbits
; Kernel info:
; codeLenInByte = 0
; NumSgprs: 4
; NumVgprs: 0
; NumAgprs: 0
; TotalNumVgprs: 0
; ScratchSize: 0
; MemoryBound: 0
; FloatMode: 240
; IeeeMode: 1
; LDSByteSize: 0 bytes/workgroup (compile time only)
; SGPRBlocks: 0
; VGPRBlocks: 0
; NumSGPRsForWavesPerEU: 4
; NumVGPRsForWavesPerEU: 1
; AccumOffset: 4
; Occupancy: 8
; WaveLimiterHint : 0
; COMPUTE_PGM_RSRC2:SCRATCH_EN: 0
; COMPUTE_PGM_RSRC2:USER_SGPR: 6
; COMPUTE_PGM_RSRC2:TRAP_HANDLER: 0
; COMPUTE_PGM_RSRC2:TGID_X_EN: 1
; COMPUTE_PGM_RSRC2:TGID_Y_EN: 0
; COMPUTE_PGM_RSRC2:TGID_Z_EN: 0
; COMPUTE_PGM_RSRC2:TIDIG_COMP_CNT: 0
; COMPUTE_PGM_RSRC3_GFX90A:ACCUM_OFFSET: 0
; COMPUTE_PGM_RSRC3_GFX90A:TG_SPLIT: 0
	.section	.text._ZN7rocprim17ROCPRIM_400000_NS6detail17trampoline_kernelINS0_14default_configENS1_22reduce_config_selectorIfEEZNS1_11reduce_implILb1ES3_N6thrust23THRUST_200600_302600_NS11hip_rocprim35transform_pair_of_input_iterators_tIfNS8_6detail15normal_iteratorINS8_10device_ptrIfEEEESF_8abs_diffIfEEEPffNS8_7maximumIfEEEE10hipError_tPvRmT1_T2_T3_mT4_P12ihipStream_tbEUlT_E1_NS1_11comp_targetILNS1_3genE5ELNS1_11target_archE942ELNS1_3gpuE9ELNS1_3repE0EEENS1_30default_config_static_selectorELNS0_4arch9wavefront6targetE1EEEvSP_,"axG",@progbits,_ZN7rocprim17ROCPRIM_400000_NS6detail17trampoline_kernelINS0_14default_configENS1_22reduce_config_selectorIfEEZNS1_11reduce_implILb1ES3_N6thrust23THRUST_200600_302600_NS11hip_rocprim35transform_pair_of_input_iterators_tIfNS8_6detail15normal_iteratorINS8_10device_ptrIfEEEESF_8abs_diffIfEEEPffNS8_7maximumIfEEEE10hipError_tPvRmT1_T2_T3_mT4_P12ihipStream_tbEUlT_E1_NS1_11comp_targetILNS1_3genE5ELNS1_11target_archE942ELNS1_3gpuE9ELNS1_3repE0EEENS1_30default_config_static_selectorELNS0_4arch9wavefront6targetE1EEEvSP_,comdat
	.protected	_ZN7rocprim17ROCPRIM_400000_NS6detail17trampoline_kernelINS0_14default_configENS1_22reduce_config_selectorIfEEZNS1_11reduce_implILb1ES3_N6thrust23THRUST_200600_302600_NS11hip_rocprim35transform_pair_of_input_iterators_tIfNS8_6detail15normal_iteratorINS8_10device_ptrIfEEEESF_8abs_diffIfEEEPffNS8_7maximumIfEEEE10hipError_tPvRmT1_T2_T3_mT4_P12ihipStream_tbEUlT_E1_NS1_11comp_targetILNS1_3genE5ELNS1_11target_archE942ELNS1_3gpuE9ELNS1_3repE0EEENS1_30default_config_static_selectorELNS0_4arch9wavefront6targetE1EEEvSP_ ; -- Begin function _ZN7rocprim17ROCPRIM_400000_NS6detail17trampoline_kernelINS0_14default_configENS1_22reduce_config_selectorIfEEZNS1_11reduce_implILb1ES3_N6thrust23THRUST_200600_302600_NS11hip_rocprim35transform_pair_of_input_iterators_tIfNS8_6detail15normal_iteratorINS8_10device_ptrIfEEEESF_8abs_diffIfEEEPffNS8_7maximumIfEEEE10hipError_tPvRmT1_T2_T3_mT4_P12ihipStream_tbEUlT_E1_NS1_11comp_targetILNS1_3genE5ELNS1_11target_archE942ELNS1_3gpuE9ELNS1_3repE0EEENS1_30default_config_static_selectorELNS0_4arch9wavefront6targetE1EEEvSP_
	.globl	_ZN7rocprim17ROCPRIM_400000_NS6detail17trampoline_kernelINS0_14default_configENS1_22reduce_config_selectorIfEEZNS1_11reduce_implILb1ES3_N6thrust23THRUST_200600_302600_NS11hip_rocprim35transform_pair_of_input_iterators_tIfNS8_6detail15normal_iteratorINS8_10device_ptrIfEEEESF_8abs_diffIfEEEPffNS8_7maximumIfEEEE10hipError_tPvRmT1_T2_T3_mT4_P12ihipStream_tbEUlT_E1_NS1_11comp_targetILNS1_3genE5ELNS1_11target_archE942ELNS1_3gpuE9ELNS1_3repE0EEENS1_30default_config_static_selectorELNS0_4arch9wavefront6targetE1EEEvSP_
	.p2align	8
	.type	_ZN7rocprim17ROCPRIM_400000_NS6detail17trampoline_kernelINS0_14default_configENS1_22reduce_config_selectorIfEEZNS1_11reduce_implILb1ES3_N6thrust23THRUST_200600_302600_NS11hip_rocprim35transform_pair_of_input_iterators_tIfNS8_6detail15normal_iteratorINS8_10device_ptrIfEEEESF_8abs_diffIfEEEPffNS8_7maximumIfEEEE10hipError_tPvRmT1_T2_T3_mT4_P12ihipStream_tbEUlT_E1_NS1_11comp_targetILNS1_3genE5ELNS1_11target_archE942ELNS1_3gpuE9ELNS1_3repE0EEENS1_30default_config_static_selectorELNS0_4arch9wavefront6targetE1EEEvSP_,@function
_ZN7rocprim17ROCPRIM_400000_NS6detail17trampoline_kernelINS0_14default_configENS1_22reduce_config_selectorIfEEZNS1_11reduce_implILb1ES3_N6thrust23THRUST_200600_302600_NS11hip_rocprim35transform_pair_of_input_iterators_tIfNS8_6detail15normal_iteratorINS8_10device_ptrIfEEEESF_8abs_diffIfEEEPffNS8_7maximumIfEEEE10hipError_tPvRmT1_T2_T3_mT4_P12ihipStream_tbEUlT_E1_NS1_11comp_targetILNS1_3genE5ELNS1_11target_archE942ELNS1_3gpuE9ELNS1_3repE0EEENS1_30default_config_static_selectorELNS0_4arch9wavefront6targetE1EEEvSP_: ; @_ZN7rocprim17ROCPRIM_400000_NS6detail17trampoline_kernelINS0_14default_configENS1_22reduce_config_selectorIfEEZNS1_11reduce_implILb1ES3_N6thrust23THRUST_200600_302600_NS11hip_rocprim35transform_pair_of_input_iterators_tIfNS8_6detail15normal_iteratorINS8_10device_ptrIfEEEESF_8abs_diffIfEEEPffNS8_7maximumIfEEEE10hipError_tPvRmT1_T2_T3_mT4_P12ihipStream_tbEUlT_E1_NS1_11comp_targetILNS1_3genE5ELNS1_11target_archE942ELNS1_3gpuE9ELNS1_3repE0EEENS1_30default_config_static_selectorELNS0_4arch9wavefront6targetE1EEEvSP_
; %bb.0:
	.section	.rodata,"a",@progbits
	.p2align	6, 0x0
	.amdhsa_kernel _ZN7rocprim17ROCPRIM_400000_NS6detail17trampoline_kernelINS0_14default_configENS1_22reduce_config_selectorIfEEZNS1_11reduce_implILb1ES3_N6thrust23THRUST_200600_302600_NS11hip_rocprim35transform_pair_of_input_iterators_tIfNS8_6detail15normal_iteratorINS8_10device_ptrIfEEEESF_8abs_diffIfEEEPffNS8_7maximumIfEEEE10hipError_tPvRmT1_T2_T3_mT4_P12ihipStream_tbEUlT_E1_NS1_11comp_targetILNS1_3genE5ELNS1_11target_archE942ELNS1_3gpuE9ELNS1_3repE0EEENS1_30default_config_static_selectorELNS0_4arch9wavefront6targetE1EEEvSP_
		.amdhsa_group_segment_fixed_size 0
		.amdhsa_private_segment_fixed_size 0
		.amdhsa_kernarg_size 56
		.amdhsa_user_sgpr_count 6
		.amdhsa_user_sgpr_private_segment_buffer 1
		.amdhsa_user_sgpr_dispatch_ptr 0
		.amdhsa_user_sgpr_queue_ptr 0
		.amdhsa_user_sgpr_kernarg_segment_ptr 1
		.amdhsa_user_sgpr_dispatch_id 0
		.amdhsa_user_sgpr_flat_scratch_init 0
		.amdhsa_user_sgpr_kernarg_preload_length 0
		.amdhsa_user_sgpr_kernarg_preload_offset 0
		.amdhsa_user_sgpr_private_segment_size 0
		.amdhsa_uses_dynamic_stack 0
		.amdhsa_system_sgpr_private_segment_wavefront_offset 0
		.amdhsa_system_sgpr_workgroup_id_x 1
		.amdhsa_system_sgpr_workgroup_id_y 0
		.amdhsa_system_sgpr_workgroup_id_z 0
		.amdhsa_system_sgpr_workgroup_info 0
		.amdhsa_system_vgpr_workitem_id 0
		.amdhsa_next_free_vgpr 1
		.amdhsa_next_free_sgpr 0
		.amdhsa_accum_offset 4
		.amdhsa_reserve_vcc 0
		.amdhsa_reserve_flat_scratch 0
		.amdhsa_float_round_mode_32 0
		.amdhsa_float_round_mode_16_64 0
		.amdhsa_float_denorm_mode_32 3
		.amdhsa_float_denorm_mode_16_64 3
		.amdhsa_dx10_clamp 1
		.amdhsa_ieee_mode 1
		.amdhsa_fp16_overflow 0
		.amdhsa_tg_split 0
		.amdhsa_exception_fp_ieee_invalid_op 0
		.amdhsa_exception_fp_denorm_src 0
		.amdhsa_exception_fp_ieee_div_zero 0
		.amdhsa_exception_fp_ieee_overflow 0
		.amdhsa_exception_fp_ieee_underflow 0
		.amdhsa_exception_fp_ieee_inexact 0
		.amdhsa_exception_int_div_zero 0
	.end_amdhsa_kernel
	.section	.text._ZN7rocprim17ROCPRIM_400000_NS6detail17trampoline_kernelINS0_14default_configENS1_22reduce_config_selectorIfEEZNS1_11reduce_implILb1ES3_N6thrust23THRUST_200600_302600_NS11hip_rocprim35transform_pair_of_input_iterators_tIfNS8_6detail15normal_iteratorINS8_10device_ptrIfEEEESF_8abs_diffIfEEEPffNS8_7maximumIfEEEE10hipError_tPvRmT1_T2_T3_mT4_P12ihipStream_tbEUlT_E1_NS1_11comp_targetILNS1_3genE5ELNS1_11target_archE942ELNS1_3gpuE9ELNS1_3repE0EEENS1_30default_config_static_selectorELNS0_4arch9wavefront6targetE1EEEvSP_,"axG",@progbits,_ZN7rocprim17ROCPRIM_400000_NS6detail17trampoline_kernelINS0_14default_configENS1_22reduce_config_selectorIfEEZNS1_11reduce_implILb1ES3_N6thrust23THRUST_200600_302600_NS11hip_rocprim35transform_pair_of_input_iterators_tIfNS8_6detail15normal_iteratorINS8_10device_ptrIfEEEESF_8abs_diffIfEEEPffNS8_7maximumIfEEEE10hipError_tPvRmT1_T2_T3_mT4_P12ihipStream_tbEUlT_E1_NS1_11comp_targetILNS1_3genE5ELNS1_11target_archE942ELNS1_3gpuE9ELNS1_3repE0EEENS1_30default_config_static_selectorELNS0_4arch9wavefront6targetE1EEEvSP_,comdat
.Lfunc_end29:
	.size	_ZN7rocprim17ROCPRIM_400000_NS6detail17trampoline_kernelINS0_14default_configENS1_22reduce_config_selectorIfEEZNS1_11reduce_implILb1ES3_N6thrust23THRUST_200600_302600_NS11hip_rocprim35transform_pair_of_input_iterators_tIfNS8_6detail15normal_iteratorINS8_10device_ptrIfEEEESF_8abs_diffIfEEEPffNS8_7maximumIfEEEE10hipError_tPvRmT1_T2_T3_mT4_P12ihipStream_tbEUlT_E1_NS1_11comp_targetILNS1_3genE5ELNS1_11target_archE942ELNS1_3gpuE9ELNS1_3repE0EEENS1_30default_config_static_selectorELNS0_4arch9wavefront6targetE1EEEvSP_, .Lfunc_end29-_ZN7rocprim17ROCPRIM_400000_NS6detail17trampoline_kernelINS0_14default_configENS1_22reduce_config_selectorIfEEZNS1_11reduce_implILb1ES3_N6thrust23THRUST_200600_302600_NS11hip_rocprim35transform_pair_of_input_iterators_tIfNS8_6detail15normal_iteratorINS8_10device_ptrIfEEEESF_8abs_diffIfEEEPffNS8_7maximumIfEEEE10hipError_tPvRmT1_T2_T3_mT4_P12ihipStream_tbEUlT_E1_NS1_11comp_targetILNS1_3genE5ELNS1_11target_archE942ELNS1_3gpuE9ELNS1_3repE0EEENS1_30default_config_static_selectorELNS0_4arch9wavefront6targetE1EEEvSP_
                                        ; -- End function
	.section	.AMDGPU.csdata,"",@progbits
; Kernel info:
; codeLenInByte = 0
; NumSgprs: 4
; NumVgprs: 0
; NumAgprs: 0
; TotalNumVgprs: 0
; ScratchSize: 0
; MemoryBound: 0
; FloatMode: 240
; IeeeMode: 1
; LDSByteSize: 0 bytes/workgroup (compile time only)
; SGPRBlocks: 0
; VGPRBlocks: 0
; NumSGPRsForWavesPerEU: 4
; NumVGPRsForWavesPerEU: 1
; AccumOffset: 4
; Occupancy: 8
; WaveLimiterHint : 0
; COMPUTE_PGM_RSRC2:SCRATCH_EN: 0
; COMPUTE_PGM_RSRC2:USER_SGPR: 6
; COMPUTE_PGM_RSRC2:TRAP_HANDLER: 0
; COMPUTE_PGM_RSRC2:TGID_X_EN: 1
; COMPUTE_PGM_RSRC2:TGID_Y_EN: 0
; COMPUTE_PGM_RSRC2:TGID_Z_EN: 0
; COMPUTE_PGM_RSRC2:TIDIG_COMP_CNT: 0
; COMPUTE_PGM_RSRC3_GFX90A:ACCUM_OFFSET: 0
; COMPUTE_PGM_RSRC3_GFX90A:TG_SPLIT: 0
	.section	.text._ZN7rocprim17ROCPRIM_400000_NS6detail17trampoline_kernelINS0_14default_configENS1_22reduce_config_selectorIfEEZNS1_11reduce_implILb1ES3_N6thrust23THRUST_200600_302600_NS11hip_rocprim35transform_pair_of_input_iterators_tIfNS8_6detail15normal_iteratorINS8_10device_ptrIfEEEESF_8abs_diffIfEEEPffNS8_7maximumIfEEEE10hipError_tPvRmT1_T2_T3_mT4_P12ihipStream_tbEUlT_E1_NS1_11comp_targetILNS1_3genE4ELNS1_11target_archE910ELNS1_3gpuE8ELNS1_3repE0EEENS1_30default_config_static_selectorELNS0_4arch9wavefront6targetE1EEEvSP_,"axG",@progbits,_ZN7rocprim17ROCPRIM_400000_NS6detail17trampoline_kernelINS0_14default_configENS1_22reduce_config_selectorIfEEZNS1_11reduce_implILb1ES3_N6thrust23THRUST_200600_302600_NS11hip_rocprim35transform_pair_of_input_iterators_tIfNS8_6detail15normal_iteratorINS8_10device_ptrIfEEEESF_8abs_diffIfEEEPffNS8_7maximumIfEEEE10hipError_tPvRmT1_T2_T3_mT4_P12ihipStream_tbEUlT_E1_NS1_11comp_targetILNS1_3genE4ELNS1_11target_archE910ELNS1_3gpuE8ELNS1_3repE0EEENS1_30default_config_static_selectorELNS0_4arch9wavefront6targetE1EEEvSP_,comdat
	.protected	_ZN7rocprim17ROCPRIM_400000_NS6detail17trampoline_kernelINS0_14default_configENS1_22reduce_config_selectorIfEEZNS1_11reduce_implILb1ES3_N6thrust23THRUST_200600_302600_NS11hip_rocprim35transform_pair_of_input_iterators_tIfNS8_6detail15normal_iteratorINS8_10device_ptrIfEEEESF_8abs_diffIfEEEPffNS8_7maximumIfEEEE10hipError_tPvRmT1_T2_T3_mT4_P12ihipStream_tbEUlT_E1_NS1_11comp_targetILNS1_3genE4ELNS1_11target_archE910ELNS1_3gpuE8ELNS1_3repE0EEENS1_30default_config_static_selectorELNS0_4arch9wavefront6targetE1EEEvSP_ ; -- Begin function _ZN7rocprim17ROCPRIM_400000_NS6detail17trampoline_kernelINS0_14default_configENS1_22reduce_config_selectorIfEEZNS1_11reduce_implILb1ES3_N6thrust23THRUST_200600_302600_NS11hip_rocprim35transform_pair_of_input_iterators_tIfNS8_6detail15normal_iteratorINS8_10device_ptrIfEEEESF_8abs_diffIfEEEPffNS8_7maximumIfEEEE10hipError_tPvRmT1_T2_T3_mT4_P12ihipStream_tbEUlT_E1_NS1_11comp_targetILNS1_3genE4ELNS1_11target_archE910ELNS1_3gpuE8ELNS1_3repE0EEENS1_30default_config_static_selectorELNS0_4arch9wavefront6targetE1EEEvSP_
	.globl	_ZN7rocprim17ROCPRIM_400000_NS6detail17trampoline_kernelINS0_14default_configENS1_22reduce_config_selectorIfEEZNS1_11reduce_implILb1ES3_N6thrust23THRUST_200600_302600_NS11hip_rocprim35transform_pair_of_input_iterators_tIfNS8_6detail15normal_iteratorINS8_10device_ptrIfEEEESF_8abs_diffIfEEEPffNS8_7maximumIfEEEE10hipError_tPvRmT1_T2_T3_mT4_P12ihipStream_tbEUlT_E1_NS1_11comp_targetILNS1_3genE4ELNS1_11target_archE910ELNS1_3gpuE8ELNS1_3repE0EEENS1_30default_config_static_selectorELNS0_4arch9wavefront6targetE1EEEvSP_
	.p2align	8
	.type	_ZN7rocprim17ROCPRIM_400000_NS6detail17trampoline_kernelINS0_14default_configENS1_22reduce_config_selectorIfEEZNS1_11reduce_implILb1ES3_N6thrust23THRUST_200600_302600_NS11hip_rocprim35transform_pair_of_input_iterators_tIfNS8_6detail15normal_iteratorINS8_10device_ptrIfEEEESF_8abs_diffIfEEEPffNS8_7maximumIfEEEE10hipError_tPvRmT1_T2_T3_mT4_P12ihipStream_tbEUlT_E1_NS1_11comp_targetILNS1_3genE4ELNS1_11target_archE910ELNS1_3gpuE8ELNS1_3repE0EEENS1_30default_config_static_selectorELNS0_4arch9wavefront6targetE1EEEvSP_,@function
_ZN7rocprim17ROCPRIM_400000_NS6detail17trampoline_kernelINS0_14default_configENS1_22reduce_config_selectorIfEEZNS1_11reduce_implILb1ES3_N6thrust23THRUST_200600_302600_NS11hip_rocprim35transform_pair_of_input_iterators_tIfNS8_6detail15normal_iteratorINS8_10device_ptrIfEEEESF_8abs_diffIfEEEPffNS8_7maximumIfEEEE10hipError_tPvRmT1_T2_T3_mT4_P12ihipStream_tbEUlT_E1_NS1_11comp_targetILNS1_3genE4ELNS1_11target_archE910ELNS1_3gpuE8ELNS1_3repE0EEENS1_30default_config_static_selectorELNS0_4arch9wavefront6targetE1EEEvSP_: ; @_ZN7rocprim17ROCPRIM_400000_NS6detail17trampoline_kernelINS0_14default_configENS1_22reduce_config_selectorIfEEZNS1_11reduce_implILb1ES3_N6thrust23THRUST_200600_302600_NS11hip_rocprim35transform_pair_of_input_iterators_tIfNS8_6detail15normal_iteratorINS8_10device_ptrIfEEEESF_8abs_diffIfEEEPffNS8_7maximumIfEEEE10hipError_tPvRmT1_T2_T3_mT4_P12ihipStream_tbEUlT_E1_NS1_11comp_targetILNS1_3genE4ELNS1_11target_archE910ELNS1_3gpuE8ELNS1_3repE0EEENS1_30default_config_static_selectorELNS0_4arch9wavefront6targetE1EEEvSP_
; %bb.0:
	s_load_dword s33, s[4:5], 0x4
	s_load_dwordx4 s[72:75], s[4:5], 0x8
	s_load_dwordx4 s[68:71], s[4:5], 0x20
	s_waitcnt lgkmcnt(0)
	s_cmp_lt_i32 s33, 8
	s_cbranch_scc1 .LBB30_11
; %bb.1:
	s_cmp_gt_i32 s33, 15
	s_cbranch_scc0 .LBB30_12
; %bb.2:
	s_cmp_gt_i32 s33, 31
	s_cbranch_scc0 .LBB30_13
; %bb.3:
	s_cmp_eq_u32 s33, 32
	s_mov_b64 s[76:77], 0
	s_cbranch_scc0 .LBB30_14
; %bb.4:
	s_mov_b32 s7, 0
	s_lshl_b32 s0, s6, 12
	s_mov_b32 s1, s7
	s_lshr_b64 s[2:3], s[68:69], 12
	s_lshl_b64 s[8:9], s[0:1], 2
	s_add_u32 s66, s72, s8
	s_addc_u32 s67, s73, s9
	s_add_u32 s78, s74, s8
	s_addc_u32 s79, s75, s9
	s_cmp_lg_u64 s[2:3], s[6:7]
	s_cbranch_scc0 .LBB30_23
; %bb.5:
	v_lshlrev_b32_e32 v1, 2, v0
	v_add_co_u32_e32 v12, vcc, s66, v1
	v_mov_b32_e32 v2, s67
	v_addc_co_u32_e32 v13, vcc, 0, v2, vcc
	v_add_co_u32_e32 v14, vcc, s78, v1
	v_mov_b32_e32 v2, s79
	v_addc_co_u32_e32 v15, vcc, 0, v2, vcc
	global_load_dword v2, v1, s[66:67]
	global_load_dword v4, v1, s[78:79]
	global_load_dword v3, v1, s[66:67] offset:512
	global_load_dword v5, v1, s[78:79] offset:512
	s_movk_i32 s1, 0x1000
	s_movk_i32 s2, 0x2000
	s_waitcnt vmcnt(0)
	v_pk_add_f32 v[2:3], v[4:5], v[2:3] neg_lo:[0,1] neg_hi:[0,1]
	global_load_dword v4, v1, s[66:67] offset:1024
	global_load_dword v5, v1, s[78:79] offset:1024
	s_waitcnt vmcnt(0)
	v_sub_f32_e32 v16, v5, v4
	global_load_dword v4, v1, s[66:67] offset:1536
	global_load_dword v5, v1, s[78:79] offset:1536
	s_waitcnt vmcnt(0)
	v_sub_f32_e32 v17, v5, v4
	;; [unrolled: 4-line block ×6, first 2 shown]
	v_add_co_u32_e32 v4, vcc, s1, v12
	v_addc_co_u32_e32 v5, vcc, 0, v13, vcc
	v_add_co_u32_e32 v6, vcc, s2, v12
	v_addc_co_u32_e32 v7, vcc, 0, v13, vcc
	;; [unrolled: 2-line block ×4, first 2 shown]
	global_load_dword v21, v[6:7], off offset:-4096
	global_load_dword v22, v[10:11], off offset:-4096
	s_movk_i32 s1, 0x3000
	s_waitcnt vmcnt(0)
	v_sub_f32_e32 v21, v22, v21
	global_load_dword v22, v[4:5], off offset:512
	global_load_dword v23, v[8:9], off offset:512
	s_waitcnt vmcnt(0)
	v_sub_f32_e32 v22, v23, v22
	global_load_dword v23, v[4:5], off offset:1024
	global_load_dword v24, v[8:9], off offset:1024
	;; [unrolled: 4-line block ×7, first 2 shown]
	s_nop 0
	global_load_dword v4, v[6:7], off
	global_load_dword v5, v[10:11], off
	s_waitcnt vmcnt(2)
	v_sub_f32_e32 v8, v29, v28
	s_waitcnt vmcnt(0)
	v_sub_f32_e32 v9, v5, v4
	global_load_dword v4, v[6:7], off offset:512
	global_load_dword v5, v[10:11], off offset:512
	s_waitcnt vmcnt(0)
	v_sub_f32_e32 v28, v5, v4
	global_load_dword v4, v[6:7], off offset:1024
	global_load_dword v5, v[10:11], off offset:1024
	;; [unrolled: 4-line block ×7, first 2 shown]
	s_waitcnt vmcnt(0)
	v_sub_f32_e32 v10, v5, v4
	v_add_co_u32_e32 v4, vcc, s1, v12
	v_addc_co_u32_e32 v5, vcc, 0, v13, vcc
	v_add_co_u32_e32 v6, vcc, s1, v14
	v_addc_co_u32_e32 v7, vcc, 0, v15, vcc
	global_load_dword v11, v[4:5], off
	global_load_dword v12, v[6:7], off
	v_cmp_lt_f32_e64 vcc, |v2|, |v3|
	v_cndmask_b32_e32 v2, v2, v3, vcc
	v_cmp_lt_f32_e64 vcc, |v2|, |v16|
	v_cndmask_b32_e32 v2, v2, v16, vcc
	;; [unrolled: 2-line block ×23, first 2 shown]
	v_mbcnt_lo_u32_b32 v2, -1, 0
	v_mbcnt_hi_u32_b32 v2, -1, v2
	s_waitcnt vmcnt(0)
	v_sub_f32_e32 v11, v12, v11
	global_load_dword v12, v[4:5], off offset:512
	global_load_dword v13, v[6:7], off offset:512
	v_cmp_lt_f32_e64 vcc, |v1|, |v11|
	v_cndmask_b32_e32 v1, v1, v11, vcc
	s_waitcnt vmcnt(0)
	v_sub_f32_e32 v12, v13, v12
	global_load_dword v13, v[4:5], off offset:1024
	global_load_dword v14, v[6:7], off offset:1024
	v_cmp_lt_f32_e64 vcc, |v1|, |v12|
	v_cndmask_b32_e32 v1, v1, v12, vcc
	;; [unrolled: 6-line block ×7, first 2 shown]
	s_waitcnt vmcnt(0)
	v_sub_f32_e32 v4, v37, v36
	v_cmp_lt_f32_e64 s[2:3], |v1|, |v4|
	v_cndmask_b32_e64 v1, |v1|, |v4|, s[2:3]
	s_nop 1
	v_mov_b32_dpp v3, v1 quad_perm:[1,0,3,2] row_mask:0xf bank_mask:0xf bound_ctrl:1
	v_cmp_gt_f32_e32 vcc, v1, v3
	v_cndmask_b32_e32 v1, v3, v1, vcc
	s_nop 1
	v_mov_b32_dpp v3, v1 quad_perm:[2,3,0,1] row_mask:0xf bank_mask:0xf bound_ctrl:1
	v_cmp_gt_f32_e32 vcc, v1, v3
	v_cndmask_b32_e32 v1, v3, v1, vcc
	s_nop 1
	v_mov_b32_dpp v3, v1 row_ror:4 row_mask:0xf bank_mask:0xf bound_ctrl:1
	v_cmp_gt_f32_e32 vcc, v1, v3
	v_cndmask_b32_e32 v1, v3, v1, vcc
	s_nop 1
	v_mov_b32_dpp v3, v1 row_ror:8 row_mask:0xf bank_mask:0xf bound_ctrl:1
	v_cmp_gt_f32_e32 vcc, v1, v3
	v_cndmask_b32_e32 v1, v3, v1, vcc
	s_nop 1
	v_mov_b32_dpp v3, v1 row_bcast:15 row_mask:0xf bank_mask:0xf bound_ctrl:1
	v_cmp_gt_f32_e32 vcc, v1, v3
	v_cndmask_b32_e32 v1, v3, v1, vcc
	s_nop 1
	v_mov_b32_dpp v3, v1 row_bcast:31 row_mask:0xf bank_mask:0xf bound_ctrl:1
	v_cmp_gt_f32_e32 vcc, v1, v3
	v_cndmask_b32_e32 v1, v3, v1, vcc
	v_lshlrev_b32_e32 v3, 2, v2
	v_or_b32_e32 v4, 0xfc, v3
	ds_bpermute_b32 v1, v4, v1
	v_cmp_eq_u32_e32 vcc, 0, v2
	s_and_saveexec_b64 s[2:3], vcc
	s_cbranch_execz .LBB30_7
; %bb.6:
	v_lshrrev_b32_e32 v4, 4, v0
	v_and_b32_e32 v4, 4, v4
	s_waitcnt lgkmcnt(0)
	ds_write_b32 v4, v1 offset:24
.LBB30_7:
	s_or_b64 exec, exec, s[2:3]
	v_cmp_gt_u32_e32 vcc, 64, v0
	s_waitcnt lgkmcnt(0)
	s_barrier
	s_and_saveexec_b64 s[2:3], vcc
	s_cbranch_execz .LBB30_9
; %bb.8:
	v_and_b32_e32 v1, 1, v2
	v_lshlrev_b32_e32 v1, 2, v1
	ds_read_b32 v1, v1 offset:24
	v_or_b32_e32 v2, 4, v3
	s_waitcnt lgkmcnt(0)
	ds_bpermute_b32 v2, v2, v1
	s_waitcnt lgkmcnt(0)
	v_cmp_lt_f32_e32 vcc, v1, v2
	v_cndmask_b32_e32 v1, v1, v2, vcc
.LBB30_9:
	s_or_b64 exec, exec, s[2:3]
.LBB30_10:
	v_cmp_eq_u32_e64 s[0:1], 0, v0
	s_and_b64 vcc, exec, s[76:77]
	s_cbranch_vccnz .LBB30_15
	s_branch .LBB30_93
.LBB30_11:
	s_mov_b64 s[0:1], 0
                                        ; implicit-def: $vgpr1
	s_cbranch_execnz .LBB30_166
	s_branch .LBB30_224
.LBB30_12:
	s_mov_b64 s[0:1], 0
                                        ; implicit-def: $vgpr1
	s_cbranch_execnz .LBB30_134
	s_branch .LBB30_142
.LBB30_13:
	s_mov_b64 s[76:77], -1
.LBB30_14:
	s_mov_b64 s[0:1], 0
                                        ; implicit-def: $vgpr1
	s_and_b64 vcc, exec, s[76:77]
	s_cbranch_vccz .LBB30_93
.LBB30_15:
	s_cmp_eq_u32 s33, 16
	s_cbranch_scc0 .LBB30_22
; %bb.16:
	s_mov_b32 s7, 0
	s_lshl_b32 s0, s6, 11
	s_mov_b32 s1, s7
	s_lshr_b64 s[2:3], s[68:69], 11
	s_lshl_b64 s[8:9], s[0:1], 2
	s_add_u32 s34, s72, s8
	s_addc_u32 s35, s73, s9
	s_add_u32 s36, s74, s8
	s_addc_u32 s37, s75, s9
	s_cmp_lg_u64 s[2:3], s[6:7]
	s_cbranch_scc0 .LBB30_94
; %bb.17:
	v_lshlrev_b32_e32 v1, 2, v0
	v_mov_b32_e32 v2, s35
	v_add_co_u32_e32 v6, vcc, s34, v1
	v_addc_co_u32_e32 v7, vcc, 0, v2, vcc
	v_mov_b32_e32 v2, s37
	v_add_co_u32_e32 v8, vcc, s36, v1
	v_addc_co_u32_e32 v9, vcc, 0, v2, vcc
	global_load_dword v2, v1, s[34:35]
	global_load_dword v3, v1, s[34:35] offset:512
	global_load_dword v10, v1, s[34:35] offset:1024
	;; [unrolled: 1-line block ×7, first 2 shown]
	global_load_dword v4, v1, s[36:37]
	global_load_dword v5, v1, s[36:37] offset:512
	global_load_dword v16, v1, s[36:37] offset:1024
	;; [unrolled: 1-line block ×6, first 2 shown]
	s_nop 0
	global_load_dword v1, v1, s[36:37] offset:3584
	s_movk_i32 s1, 0x1000
	v_add_co_u32_e32 v6, vcc, s1, v6
	v_addc_co_u32_e32 v7, vcc, 0, v7, vcc
	v_add_co_u32_e32 v8, vcc, s1, v8
	v_addc_co_u32_e32 v9, vcc, 0, v9, vcc
	global_load_dword v21, v[6:7], off
	global_load_dword v22, v[6:7], off offset:512
	global_load_dword v23, v[6:7], off offset:1024
	;; [unrolled: 1-line block ×7, first 2 shown]
	global_load_dword v29, v[8:9], off
	global_load_dword v30, v[8:9], off offset:512
	global_load_dword v31, v[8:9], off offset:1024
	;; [unrolled: 1-line block ×6, first 2 shown]
                                        ; kill: killed $vgpr6 killed $vgpr7
	global_load_dword v6, v[8:9], off offset:3584
	s_waitcnt vmcnt(22)
	v_pk_add_f32 v[2:3], v[4:5], v[2:3] neg_lo:[0,1] neg_hi:[0,1]
	v_cmp_lt_f32_e64 vcc, |v2|, |v3|
	s_waitcnt vmcnt(21)
	v_sub_f32_e32 v4, v16, v10
	v_cndmask_b32_e32 v2, v2, v3, vcc
	v_cmp_lt_f32_e64 vcc, |v2|, |v4|
	s_waitcnt vmcnt(20)
	v_sub_f32_e32 v5, v17, v11
	v_cndmask_b32_e32 v2, v2, v4, vcc
	;; [unrolled: 4-line block ×14, first 2 shown]
	v_cmp_lt_f32_e64 s[2:3], |v1|, |v6|
	v_cndmask_b32_e64 v1, |v1|, |v6|, s[2:3]
	v_mbcnt_lo_u32_b32 v2, -1, 0
	v_mbcnt_hi_u32_b32 v2, -1, v2
	v_mov_b32_dpp v3, v1 quad_perm:[1,0,3,2] row_mask:0xf bank_mask:0xf bound_ctrl:1
	v_cmp_gt_f32_e32 vcc, v1, v3
	v_cndmask_b32_e32 v1, v3, v1, vcc
	s_nop 1
	v_mov_b32_dpp v3, v1 quad_perm:[2,3,0,1] row_mask:0xf bank_mask:0xf bound_ctrl:1
	v_cmp_gt_f32_e32 vcc, v1, v3
	v_cndmask_b32_e32 v1, v3, v1, vcc
	s_nop 1
	v_mov_b32_dpp v3, v1 row_ror:4 row_mask:0xf bank_mask:0xf bound_ctrl:1
	v_cmp_gt_f32_e32 vcc, v1, v3
	v_cndmask_b32_e32 v1, v3, v1, vcc
	s_nop 1
	v_mov_b32_dpp v3, v1 row_ror:8 row_mask:0xf bank_mask:0xf bound_ctrl:1
	v_cmp_gt_f32_e32 vcc, v1, v3
	v_cndmask_b32_e32 v1, v3, v1, vcc
	s_nop 1
	v_mov_b32_dpp v3, v1 row_bcast:15 row_mask:0xf bank_mask:0xf bound_ctrl:1
	v_cmp_gt_f32_e32 vcc, v1, v3
	v_cndmask_b32_e32 v1, v3, v1, vcc
	s_nop 1
	v_mov_b32_dpp v3, v1 row_bcast:31 row_mask:0xf bank_mask:0xf bound_ctrl:1
	v_cmp_gt_f32_e32 vcc, v1, v3
	v_cndmask_b32_e32 v1, v3, v1, vcc
	v_lshlrev_b32_e32 v3, 2, v2
	v_or_b32_e32 v4, 0xfc, v3
	ds_bpermute_b32 v1, v4, v1
	v_cmp_eq_u32_e32 vcc, 0, v2
	s_and_saveexec_b64 s[2:3], vcc
	s_cbranch_execz .LBB30_19
; %bb.18:
	v_lshrrev_b32_e32 v4, 4, v0
	v_and_b32_e32 v4, 4, v4
	s_waitcnt lgkmcnt(0)
	ds_write_b32 v4, v1
.LBB30_19:
	s_or_b64 exec, exec, s[2:3]
	v_cmp_gt_u32_e32 vcc, 64, v0
	s_waitcnt lgkmcnt(0)
	s_barrier
	s_and_saveexec_b64 s[2:3], vcc
	s_cbranch_execz .LBB30_21
; %bb.20:
	v_and_b32_e32 v1, 1, v2
	v_lshlrev_b32_e32 v1, 2, v1
	ds_read_b32 v1, v1
	v_or_b32_e32 v2, 4, v3
	s_waitcnt lgkmcnt(0)
	ds_bpermute_b32 v2, v2, v1
	s_waitcnt lgkmcnt(0)
	v_cmp_lt_f32_e32 vcc, v1, v2
	v_cndmask_b32_e32 v1, v1, v2, vcc
.LBB30_21:
	s_or_b64 exec, exec, s[2:3]
	s_mov_b64 s[2:3], 0
	s_branch .LBB30_95
.LBB30_22:
                                        ; implicit-def: $vgpr1
	s_branch .LBB30_142
.LBB30_23:
                                        ; implicit-def: $vgpr1
	s_cbranch_execz .LBB30_10
; %bb.24:
	s_sub_i32 s82, s68, s0
	v_cmp_gt_u32_e32 vcc, s82, v0
                                        ; implicit-def: $vgpr1
	s_and_saveexec_b64 s[0:1], vcc
	s_cbranch_execz .LBB30_26
; %bb.25:
	v_lshlrev_b32_e32 v1, 2, v0
	global_load_dword v2, v1, s[66:67]
	global_load_dword v3, v1, s[78:79]
	s_waitcnt vmcnt(0)
	v_sub_f32_e32 v1, v3, v2
	v_and_b32_e32 v1, 0x7fffffff, v1
.LBB30_26:
	s_or_b64 exec, exec, s[0:1]
	v_or_b32_e32 v2, 0x80, v0
	v_cmp_gt_u32_e32 vcc, s82, v2
                                        ; implicit-def: $vgpr2
	s_and_saveexec_b64 s[0:1], vcc
	s_cbranch_execz .LBB30_28
; %bb.27:
	v_lshlrev_b32_e32 v2, 2, v0
	global_load_dword v3, v2, s[66:67] offset:512
	global_load_dword v4, v2, s[78:79] offset:512
	s_waitcnt vmcnt(0)
	v_sub_f32_e32 v2, v4, v3
	v_and_b32_e32 v2, 0x7fffffff, v2
.LBB30_28:
	s_or_b64 exec, exec, s[0:1]
	v_or_b32_e32 v3, 0x100, v0
	v_cmp_gt_u32_e64 s[0:1], s82, v3
                                        ; implicit-def: $vgpr3
	s_and_saveexec_b64 s[2:3], s[0:1]
	s_cbranch_execz .LBB30_30
; %bb.29:
	v_lshlrev_b32_e32 v3, 2, v0
	global_load_dword v4, v3, s[66:67] offset:1024
	global_load_dword v5, v3, s[78:79] offset:1024
	s_waitcnt vmcnt(0)
	v_sub_f32_e32 v3, v5, v4
	v_and_b32_e32 v3, 0x7fffffff, v3
.LBB30_30:
	s_or_b64 exec, exec, s[2:3]
	v_or_b32_e32 v4, 0x180, v0
	v_cmp_gt_u32_e64 s[2:3], s82, v4
                                        ; implicit-def: $vgpr4
	s_and_saveexec_b64 s[8:9], s[2:3]
	s_cbranch_execz .LBB30_32
; %bb.31:
	v_lshlrev_b32_e32 v4, 2, v0
	global_load_dword v5, v4, s[66:67] offset:1536
	global_load_dword v6, v4, s[78:79] offset:1536
	s_waitcnt vmcnt(0)
	v_sub_f32_e32 v4, v6, v5
	v_and_b32_e32 v4, 0x7fffffff, v4
.LBB30_32:
	s_or_b64 exec, exec, s[8:9]
	v_or_b32_e32 v5, 0x200, v0
	v_cmp_gt_u32_e64 s[8:9], s82, v5
                                        ; implicit-def: $vgpr5
	s_and_saveexec_b64 s[10:11], s[8:9]
	s_cbranch_execz .LBB30_34
; %bb.33:
	v_lshlrev_b32_e32 v5, 2, v0
	global_load_dword v6, v5, s[66:67] offset:2048
	global_load_dword v7, v5, s[78:79] offset:2048
	s_waitcnt vmcnt(0)
	v_sub_f32_e32 v5, v7, v6
	v_and_b32_e32 v5, 0x7fffffff, v5
.LBB30_34:
	s_or_b64 exec, exec, s[10:11]
	v_or_b32_e32 v6, 0x280, v0
	v_cmp_gt_u32_e64 s[10:11], s82, v6
                                        ; implicit-def: $vgpr6
	s_and_saveexec_b64 s[12:13], s[10:11]
	s_cbranch_execz .LBB30_36
; %bb.35:
	v_lshlrev_b32_e32 v6, 2, v0
	global_load_dword v7, v6, s[66:67] offset:2560
	global_load_dword v8, v6, s[78:79] offset:2560
	s_waitcnt vmcnt(0)
	v_sub_f32_e32 v6, v8, v7
	v_and_b32_e32 v6, 0x7fffffff, v6
.LBB30_36:
	s_or_b64 exec, exec, s[12:13]
	v_or_b32_e32 v7, 0x300, v0
	v_cmp_gt_u32_e64 s[12:13], s82, v7
                                        ; implicit-def: $vgpr7
	s_and_saveexec_b64 s[14:15], s[12:13]
	s_cbranch_execz .LBB30_38
; %bb.37:
	v_lshlrev_b32_e32 v7, 2, v0
	global_load_dword v8, v7, s[66:67] offset:3072
	global_load_dword v9, v7, s[78:79] offset:3072
	s_waitcnt vmcnt(0)
	v_sub_f32_e32 v7, v9, v8
	v_and_b32_e32 v7, 0x7fffffff, v7
.LBB30_38:
	s_or_b64 exec, exec, s[14:15]
	v_or_b32_e32 v8, 0x380, v0
	v_cmp_gt_u32_e64 s[14:15], s82, v8
                                        ; implicit-def: $vgpr8
	s_and_saveexec_b64 s[16:17], s[14:15]
	s_cbranch_execz .LBB30_40
; %bb.39:
	v_lshlrev_b32_e32 v8, 2, v0
	global_load_dword v9, v8, s[66:67] offset:3584
	global_load_dword v10, v8, s[78:79] offset:3584
	s_waitcnt vmcnt(0)
	v_sub_f32_e32 v8, v10, v9
	v_and_b32_e32 v8, 0x7fffffff, v8
.LBB30_40:
	s_or_b64 exec, exec, s[16:17]
	v_or_b32_e32 v10, 0x400, v0
	v_cmp_gt_u32_e64 s[16:17], s82, v10
                                        ; implicit-def: $vgpr9
	s_and_saveexec_b64 s[18:19], s[16:17]
	s_cbranch_execz .LBB30_42
; %bb.41:
	v_lshlrev_b32_e32 v9, 2, v10
	global_load_dword v10, v9, s[66:67]
	global_load_dword v11, v9, s[78:79]
	s_waitcnt vmcnt(0)
	v_sub_f32_e32 v9, v11, v10
	v_and_b32_e32 v9, 0x7fffffff, v9
.LBB30_42:
	s_or_b64 exec, exec, s[18:19]
	v_or_b32_e32 v11, 0x480, v0
	v_cmp_gt_u32_e64 s[18:19], s82, v11
                                        ; implicit-def: $vgpr10
	s_and_saveexec_b64 s[20:21], s[18:19]
	s_cbranch_execz .LBB30_44
; %bb.43:
	v_lshlrev_b32_e32 v10, 2, v11
	global_load_dword v11, v10, s[66:67]
	global_load_dword v12, v10, s[78:79]
	s_waitcnt vmcnt(0)
	v_sub_f32_e32 v10, v12, v11
	v_and_b32_e32 v10, 0x7fffffff, v10
.LBB30_44:
	s_or_b64 exec, exec, s[20:21]
	v_or_b32_e32 v12, 0x500, v0
	v_cmp_gt_u32_e64 s[20:21], s82, v12
                                        ; implicit-def: $vgpr11
	s_and_saveexec_b64 s[22:23], s[20:21]
	s_cbranch_execz .LBB30_46
; %bb.45:
	v_lshlrev_b32_e32 v11, 2, v12
	global_load_dword v12, v11, s[66:67]
	global_load_dword v13, v11, s[78:79]
	s_waitcnt vmcnt(0)
	v_sub_f32_e32 v11, v13, v12
	v_and_b32_e32 v11, 0x7fffffff, v11
.LBB30_46:
	s_or_b64 exec, exec, s[22:23]
	v_or_b32_e32 v13, 0x580, v0
	v_cmp_gt_u32_e64 s[22:23], s82, v13
                                        ; implicit-def: $vgpr12
	s_and_saveexec_b64 s[24:25], s[22:23]
	s_cbranch_execz .LBB30_48
; %bb.47:
	v_lshlrev_b32_e32 v12, 2, v13
	global_load_dword v13, v12, s[66:67]
	global_load_dword v14, v12, s[78:79]
	s_waitcnt vmcnt(0)
	v_sub_f32_e32 v12, v14, v13
	v_and_b32_e32 v12, 0x7fffffff, v12
.LBB30_48:
	s_or_b64 exec, exec, s[24:25]
	v_or_b32_e32 v14, 0x600, v0
	v_cmp_gt_u32_e64 s[24:25], s82, v14
                                        ; implicit-def: $vgpr13
	s_and_saveexec_b64 s[26:27], s[24:25]
	s_cbranch_execz .LBB30_50
; %bb.49:
	v_lshlrev_b32_e32 v13, 2, v14
	global_load_dword v14, v13, s[66:67]
	global_load_dword v15, v13, s[78:79]
	s_waitcnt vmcnt(0)
	v_sub_f32_e32 v13, v15, v14
	v_and_b32_e32 v13, 0x7fffffff, v13
.LBB30_50:
	s_or_b64 exec, exec, s[26:27]
	v_or_b32_e32 v15, 0x680, v0
	v_cmp_gt_u32_e64 s[26:27], s82, v15
                                        ; implicit-def: $vgpr14
	s_and_saveexec_b64 s[28:29], s[26:27]
	s_cbranch_execz .LBB30_52
; %bb.51:
	v_lshlrev_b32_e32 v14, 2, v15
	global_load_dword v15, v14, s[66:67]
	s_nop 0
	global_load_dword v14, v14, s[78:79]
	s_waitcnt vmcnt(0)
	v_sub_f32_e32 v14, v14, v15
	v_and_b32_e32 v14, 0x7fffffff, v14
.LBB30_52:
	s_or_b64 exec, exec, s[28:29]
	v_or_b32_e32 v16, 0x700, v0
	v_cmp_gt_u32_e64 s[28:29], s82, v16
                                        ; implicit-def: $vgpr15
	s_and_saveexec_b64 s[30:31], s[28:29]
	s_cbranch_execz .LBB30_54
; %bb.53:
	v_lshlrev_b32_e32 v15, 2, v16
	global_load_dword v16, v15, s[66:67]
	s_nop 0
	global_load_dword v15, v15, s[78:79]
	s_waitcnt vmcnt(0)
	v_sub_f32_e32 v15, v15, v16
	v_and_b32_e32 v15, 0x7fffffff, v15
.LBB30_54:
	s_or_b64 exec, exec, s[30:31]
	v_or_b32_e32 v17, 0x780, v0
	v_cmp_gt_u32_e64 s[30:31], s82, v17
                                        ; implicit-def: $vgpr16
	s_and_saveexec_b64 s[34:35], s[30:31]
	s_cbranch_execz .LBB30_56
; %bb.55:
	v_lshlrev_b32_e32 v16, 2, v17
	global_load_dword v17, v16, s[66:67]
	s_nop 0
	global_load_dword v16, v16, s[78:79]
	s_waitcnt vmcnt(0)
	v_sub_f32_e32 v16, v16, v17
	v_and_b32_e32 v16, 0x7fffffff, v16
.LBB30_56:
	s_or_b64 exec, exec, s[34:35]
	v_or_b32_e32 v18, 0x800, v0
	v_cmp_gt_u32_e64 s[34:35], s82, v18
                                        ; implicit-def: $vgpr17
	s_and_saveexec_b64 s[36:37], s[34:35]
	s_cbranch_execz .LBB30_58
; %bb.57:
	v_lshlrev_b32_e32 v17, 2, v18
	global_load_dword v18, v17, s[66:67]
	s_nop 0
	global_load_dword v17, v17, s[78:79]
	s_waitcnt vmcnt(0)
	v_sub_f32_e32 v17, v17, v18
	v_and_b32_e32 v17, 0x7fffffff, v17
.LBB30_58:
	s_or_b64 exec, exec, s[36:37]
	v_or_b32_e32 v19, 0x880, v0
	v_cmp_gt_u32_e64 s[36:37], s82, v19
                                        ; implicit-def: $vgpr18
	s_and_saveexec_b64 s[38:39], s[36:37]
	s_cbranch_execz .LBB30_60
; %bb.59:
	v_lshlrev_b32_e32 v18, 2, v19
	global_load_dword v19, v18, s[66:67]
	s_nop 0
	global_load_dword v18, v18, s[78:79]
	s_waitcnt vmcnt(0)
	v_sub_f32_e32 v18, v18, v19
	v_and_b32_e32 v18, 0x7fffffff, v18
.LBB30_60:
	s_or_b64 exec, exec, s[38:39]
	v_or_b32_e32 v20, 0x900, v0
	v_cmp_gt_u32_e64 s[38:39], s82, v20
                                        ; implicit-def: $vgpr19
	s_and_saveexec_b64 s[40:41], s[38:39]
	s_cbranch_execz .LBB30_62
; %bb.61:
	v_lshlrev_b32_e32 v19, 2, v20
	global_load_dword v20, v19, s[66:67]
	s_nop 0
	global_load_dword v19, v19, s[78:79]
	s_waitcnt vmcnt(0)
	v_sub_f32_e32 v19, v19, v20
	v_and_b32_e32 v19, 0x7fffffff, v19
.LBB30_62:
	s_or_b64 exec, exec, s[40:41]
	v_or_b32_e32 v21, 0x980, v0
	v_cmp_gt_u32_e64 s[40:41], s82, v21
                                        ; implicit-def: $vgpr20
	s_and_saveexec_b64 s[42:43], s[40:41]
	s_cbranch_execz .LBB30_64
; %bb.63:
	v_lshlrev_b32_e32 v20, 2, v21
	global_load_dword v21, v20, s[66:67]
	s_nop 0
	global_load_dword v20, v20, s[78:79]
	s_waitcnt vmcnt(0)
	v_sub_f32_e32 v20, v20, v21
	v_and_b32_e32 v20, 0x7fffffff, v20
.LBB30_64:
	s_or_b64 exec, exec, s[42:43]
	v_or_b32_e32 v22, 0xa00, v0
	v_cmp_gt_u32_e64 s[42:43], s82, v22
                                        ; implicit-def: $vgpr21
	s_and_saveexec_b64 s[44:45], s[42:43]
	s_cbranch_execz .LBB30_66
; %bb.65:
	v_lshlrev_b32_e32 v21, 2, v22
	global_load_dword v22, v21, s[66:67]
	s_nop 0
	global_load_dword v21, v21, s[78:79]
	s_waitcnt vmcnt(0)
	v_sub_f32_e32 v21, v21, v22
	v_and_b32_e32 v21, 0x7fffffff, v21
.LBB30_66:
	s_or_b64 exec, exec, s[44:45]
	v_or_b32_e32 v23, 0xa80, v0
	v_cmp_gt_u32_e64 s[44:45], s82, v23
                                        ; implicit-def: $vgpr22
	s_and_saveexec_b64 s[46:47], s[44:45]
	s_cbranch_execz .LBB30_68
; %bb.67:
	v_lshlrev_b32_e32 v22, 2, v23
	global_load_dword v23, v22, s[66:67]
	s_nop 0
	global_load_dword v22, v22, s[78:79]
	s_waitcnt vmcnt(0)
	v_sub_f32_e32 v22, v22, v23
	v_and_b32_e32 v22, 0x7fffffff, v22
.LBB30_68:
	s_or_b64 exec, exec, s[46:47]
	v_or_b32_e32 v24, 0xb00, v0
	v_cmp_gt_u32_e64 s[46:47], s82, v24
                                        ; implicit-def: $vgpr23
	s_and_saveexec_b64 s[48:49], s[46:47]
	s_cbranch_execz .LBB30_70
; %bb.69:
	v_lshlrev_b32_e32 v23, 2, v24
	global_load_dword v24, v23, s[66:67]
	s_nop 0
	global_load_dword v23, v23, s[78:79]
	s_waitcnt vmcnt(0)
	v_sub_f32_e32 v23, v23, v24
	v_and_b32_e32 v23, 0x7fffffff, v23
.LBB30_70:
	s_or_b64 exec, exec, s[48:49]
	v_or_b32_e32 v25, 0xb80, v0
	v_cmp_gt_u32_e64 s[48:49], s82, v25
                                        ; implicit-def: $vgpr24
	s_and_saveexec_b64 s[50:51], s[48:49]
	s_cbranch_execz .LBB30_72
; %bb.71:
	v_lshlrev_b32_e32 v24, 2, v25
	global_load_dword v25, v24, s[66:67]
	s_nop 0
	global_load_dword v24, v24, s[78:79]
	s_waitcnt vmcnt(0)
	v_sub_f32_e32 v24, v24, v25
	v_and_b32_e32 v24, 0x7fffffff, v24
.LBB30_72:
	s_or_b64 exec, exec, s[50:51]
	v_or_b32_e32 v26, 0xc00, v0
	v_cmp_gt_u32_e64 s[50:51], s82, v26
                                        ; implicit-def: $vgpr25
	s_and_saveexec_b64 s[52:53], s[50:51]
	s_cbranch_execz .LBB30_74
; %bb.73:
	v_lshlrev_b32_e32 v25, 2, v26
	global_load_dword v26, v25, s[66:67]
	s_nop 0
	global_load_dword v25, v25, s[78:79]
	s_waitcnt vmcnt(0)
	v_sub_f32_e32 v25, v25, v26
	v_and_b32_e32 v25, 0x7fffffff, v25
.LBB30_74:
	s_or_b64 exec, exec, s[52:53]
	v_or_b32_e32 v27, 0xc80, v0
	v_cmp_gt_u32_e64 s[52:53], s82, v27
                                        ; implicit-def: $vgpr26
	s_and_saveexec_b64 s[54:55], s[52:53]
	s_cbranch_execz .LBB30_76
; %bb.75:
	v_lshlrev_b32_e32 v26, 2, v27
	global_load_dword v27, v26, s[66:67]
	s_nop 0
	global_load_dword v26, v26, s[78:79]
	s_waitcnt vmcnt(0)
	v_sub_f32_e32 v26, v26, v27
	v_and_b32_e32 v26, 0x7fffffff, v26
.LBB30_76:
	s_or_b64 exec, exec, s[54:55]
	v_or_b32_e32 v28, 0xd00, v0
	v_cmp_gt_u32_e64 s[54:55], s82, v28
                                        ; implicit-def: $vgpr27
	s_and_saveexec_b64 s[56:57], s[54:55]
	s_cbranch_execz .LBB30_78
; %bb.77:
	v_lshlrev_b32_e32 v27, 2, v28
	global_load_dword v28, v27, s[66:67]
	s_nop 0
	global_load_dword v27, v27, s[78:79]
	s_waitcnt vmcnt(0)
	v_sub_f32_e32 v27, v27, v28
	v_and_b32_e32 v27, 0x7fffffff, v27
.LBB30_78:
	s_or_b64 exec, exec, s[56:57]
	v_or_b32_e32 v29, 0xd80, v0
	v_cmp_gt_u32_e64 s[56:57], s82, v29
                                        ; implicit-def: $vgpr28
	s_and_saveexec_b64 s[58:59], s[56:57]
	s_cbranch_execz .LBB30_80
; %bb.79:
	v_lshlrev_b32_e32 v28, 2, v29
	global_load_dword v29, v28, s[66:67]
	s_nop 0
	global_load_dword v28, v28, s[78:79]
	s_waitcnt vmcnt(0)
	v_sub_f32_e32 v28, v28, v29
	v_and_b32_e32 v28, 0x7fffffff, v28
.LBB30_80:
	s_or_b64 exec, exec, s[58:59]
	v_or_b32_e32 v30, 0xe00, v0
	v_cmp_gt_u32_e64 s[58:59], s82, v30
                                        ; implicit-def: $vgpr29
	s_and_saveexec_b64 s[60:61], s[58:59]
	s_cbranch_execz .LBB30_82
; %bb.81:
	v_lshlrev_b32_e32 v29, 2, v30
	global_load_dword v30, v29, s[66:67]
	s_nop 0
	global_load_dword v29, v29, s[78:79]
	s_waitcnt vmcnt(0)
	v_sub_f32_e32 v29, v29, v30
	v_and_b32_e32 v29, 0x7fffffff, v29
.LBB30_82:
	s_or_b64 exec, exec, s[60:61]
	v_or_b32_e32 v31, 0xe80, v0
	v_cmp_gt_u32_e64 s[60:61], s82, v31
                                        ; implicit-def: $vgpr30
	s_and_saveexec_b64 s[62:63], s[60:61]
	s_cbranch_execz .LBB30_84
; %bb.83:
	v_lshlrev_b32_e32 v30, 2, v31
	global_load_dword v31, v30, s[66:67]
	s_nop 0
	global_load_dword v30, v30, s[78:79]
	s_waitcnt vmcnt(0)
	v_sub_f32_e32 v30, v30, v31
	v_and_b32_e32 v30, 0x7fffffff, v30
.LBB30_84:
	s_or_b64 exec, exec, s[62:63]
	v_or_b32_e32 v32, 0xf00, v0
	v_cmp_gt_u32_e64 s[62:63], s82, v32
                                        ; implicit-def: $vgpr31
	s_and_saveexec_b64 s[64:65], s[62:63]
	s_cbranch_execz .LBB30_86
; %bb.85:
	v_lshlrev_b32_e32 v31, 2, v32
	global_load_dword v32, v31, s[66:67]
	s_nop 0
	global_load_dword v31, v31, s[78:79]
	s_waitcnt vmcnt(0)
	v_sub_f32_e32 v31, v31, v32
	v_and_b32_e32 v31, 0x7fffffff, v31
.LBB30_86:
	s_or_b64 exec, exec, s[64:65]
	v_or_b32_e32 v33, 0xf80, v0
	v_cmp_gt_u32_e64 s[64:65], s82, v33
                                        ; implicit-def: $vgpr32
	s_and_saveexec_b64 s[80:81], s[64:65]
	s_cbranch_execz .LBB30_88
; %bb.87:
	v_lshlrev_b32_e32 v32, 2, v33
	global_load_dword v33, v32, s[66:67]
	s_nop 0
	global_load_dword v32, v32, s[78:79]
	s_waitcnt vmcnt(0)
	v_sub_f32_e32 v32, v32, v33
	v_and_b32_e32 v32, 0x7fffffff, v32
.LBB30_88:
	s_or_b64 exec, exec, s[80:81]
	v_cmp_lt_f32_e64 s[66:67], v1, v2
	s_and_b64 vcc, vcc, s[66:67]
	v_cndmask_b32_e32 v1, v1, v2, vcc
	v_cmp_lt_f32_e32 vcc, v1, v3
	s_and_b64 vcc, s[0:1], vcc
	v_cndmask_b32_e32 v1, v1, v3, vcc
	v_cmp_lt_f32_e32 vcc, v1, v4
	s_and_b64 vcc, s[2:3], vcc
	;; [unrolled: 3-line block ×29, first 2 shown]
	v_cndmask_b32_e32 v1, v1, v31, vcc
	v_mbcnt_lo_u32_b32 v2, -1, 0
	v_cmp_lt_f32_e32 vcc, v1, v32
	v_mbcnt_hi_u32_b32 v2, -1, v2
	s_and_b64 vcc, s[64:65], vcc
	v_and_b32_e32 v3, 63, v2
	v_cndmask_b32_e32 v1, v1, v32, vcc
	v_cmp_ne_u32_e32 vcc, 63, v3
	v_addc_co_u32_e32 v4, vcc, 0, v2, vcc
	v_lshlrev_b32_e32 v4, 2, v4
	ds_bpermute_b32 v4, v4, v1
	s_min_u32 s8, s82, 0x80
	v_and_b32_e32 v5, 64, v0
	v_sub_u32_e64 v5, s8, v5 clamp
	v_add_u32_e32 v6, 1, v3
	s_waitcnt lgkmcnt(0)
	v_cmp_lt_f32_e32 vcc, v1, v4
	v_cmp_gt_u32_e64 s[0:1], 62, v3
	v_cndmask_b32_e32 v4, v1, v4, vcc
	v_cmp_lt_u32_e32 vcc, v6, v5
	v_cndmask_b32_e64 v6, 0, 1, s[0:1]
	v_lshlrev_b32_e32 v6, 1, v6
	v_cndmask_b32_e32 v4, v1, v4, vcc
	v_add_lshl_u32 v6, v6, v2, 2
	ds_bpermute_b32 v6, v6, v4
	v_add_u32_e32 v7, 2, v3
	s_waitcnt lgkmcnt(0)
	v_cmp_lt_f32_e64 s[0:1], v4, v6
	v_cndmask_b32_e64 v6, v4, v6, s[0:1]
	v_cmp_lt_u32_e64 s[0:1], v7, v5
	v_cndmask_b32_e64 v4, v4, v6, s[0:1]
	v_cmp_gt_u32_e64 s[0:1], 60, v3
	v_cndmask_b32_e64 v6, 0, 1, s[0:1]
	v_lshlrev_b32_e32 v6, 2, v6
	v_add_lshl_u32 v6, v6, v2, 2
	ds_bpermute_b32 v6, v6, v4
	v_add_u32_e32 v7, 4, v3
	s_waitcnt lgkmcnt(0)
	v_cmp_lt_f32_e64 s[0:1], v4, v6
	v_cndmask_b32_e64 v6, v4, v6, s[0:1]
	v_cmp_lt_u32_e64 s[0:1], v7, v5
	v_cndmask_b32_e64 v4, v4, v6, s[0:1]
	v_cmp_gt_u32_e64 s[0:1], 56, v3
	v_cndmask_b32_e64 v6, 0, 1, s[0:1]
	v_lshlrev_b32_e32 v6, 3, v6
	;; [unrolled: 11-line block ×4, first 2 shown]
	v_add_lshl_u32 v6, v6, v2, 2
	ds_bpermute_b32 v6, v6, v4
	v_add_u32_e32 v3, 32, v3
	v_cmp_lt_u32_e64 s[0:1], v3, v5
	s_waitcnt lgkmcnt(0)
	v_cmp_lt_f32_e64 s[2:3], v4, v6
	s_and_b64 s[0:1], s[0:1], s[2:3]
	v_cndmask_b32_e64 v3, v4, v6, s[0:1]
	v_cndmask_b32_e32 v1, v1, v3, vcc
	v_cmp_eq_u32_e32 vcc, 0, v2
	s_and_saveexec_b64 s[0:1], vcc
	s_cbranch_execz .LBB30_90
; %bb.89:
	v_lshrrev_b32_e32 v3, 4, v0
	v_and_b32_e32 v3, 4, v3
	ds_write_b32 v3, v1 offset:48
.LBB30_90:
	s_or_b64 exec, exec, s[0:1]
	v_cmp_gt_u32_e32 vcc, 2, v0
	s_waitcnt lgkmcnt(0)
	s_barrier
	s_and_saveexec_b64 s[2:3], vcc
	s_cbranch_execz .LBB30_92
; %bb.91:
	v_lshlrev_b32_e32 v1, 2, v2
	ds_read_b32 v3, v1 offset:48
	v_or_b32_e32 v1, 4, v1
	s_add_i32 s8, s8, 63
	v_and_b32_e32 v2, 1, v2
	s_lshr_b32 s0, s8, 6
	s_waitcnt lgkmcnt(0)
	ds_bpermute_b32 v1, v1, v3
	v_add_u32_e32 v2, 1, v2
	v_cmp_gt_u32_e32 vcc, s0, v2
	s_waitcnt lgkmcnt(0)
	v_cmp_lt_f32_e64 s[0:1], v3, v1
	s_and_b64 vcc, vcc, s[0:1]
	v_cndmask_b32_e32 v1, v3, v1, vcc
.LBB30_92:
	s_or_b64 exec, exec, s[2:3]
	v_cmp_eq_u32_e64 s[0:1], 0, v0
	s_and_b64 vcc, exec, s[76:77]
	s_cbranch_vccnz .LBB30_15
.LBB30_93:
	s_branch .LBB30_142
.LBB30_94:
	s_mov_b64 s[2:3], -1
                                        ; implicit-def: $vgpr1
.LBB30_95:
	s_and_b64 vcc, exec, s[2:3]
	s_cbranch_vccz .LBB30_133
; %bb.96:
	s_sub_i32 s40, s68, s0
	v_cmp_gt_u32_e32 vcc, s40, v0
                                        ; implicit-def: $vgpr2_vgpr3_vgpr4_vgpr5_vgpr6_vgpr7_vgpr8_vgpr9_vgpr10_vgpr11_vgpr12_vgpr13_vgpr14_vgpr15_vgpr16_vgpr17
	s_and_saveexec_b64 s[0:1], vcc
	s_cbranch_execz .LBB30_98
; %bb.97:
	v_lshlrev_b32_e32 v1, 2, v0
	global_load_dword v2, v1, s[34:35]
	global_load_dword v3, v1, s[36:37]
	s_waitcnt vmcnt(0)
	v_sub_f32_e32 v1, v3, v2
	v_and_b32_e32 v2, 0x7fffffff, v1
.LBB30_98:
	s_or_b64 exec, exec, s[0:1]
	v_or_b32_e32 v1, 0x80, v0
	v_cmp_gt_u32_e32 vcc, s40, v1
	s_and_saveexec_b64 s[0:1], vcc
	s_cbranch_execz .LBB30_100
; %bb.99:
	v_lshlrev_b32_e32 v1, 2, v0
	global_load_dword v3, v1, s[34:35] offset:512
	global_load_dword v18, v1, s[36:37] offset:512
	s_waitcnt vmcnt(0)
	v_sub_f32_e32 v1, v18, v3
	v_and_b32_e32 v3, 0x7fffffff, v1
.LBB30_100:
	s_or_b64 exec, exec, s[0:1]
	v_or_b32_e32 v1, 0x100, v0
	v_cmp_gt_u32_e64 s[0:1], s40, v1
	s_and_saveexec_b64 s[2:3], s[0:1]
	s_cbranch_execz .LBB30_102
; %bb.101:
	v_lshlrev_b32_e32 v1, 2, v0
	global_load_dword v4, v1, s[34:35] offset:1024
	global_load_dword v18, v1, s[36:37] offset:1024
	s_waitcnt vmcnt(0)
	v_sub_f32_e32 v1, v18, v4
	v_and_b32_e32 v4, 0x7fffffff, v1
.LBB30_102:
	s_or_b64 exec, exec, s[2:3]
	v_or_b32_e32 v1, 0x180, v0
	v_cmp_gt_u32_e64 s[2:3], s40, v1
	s_and_saveexec_b64 s[8:9], s[2:3]
	;; [unrolled: 13-line block ×7, first 2 shown]
	s_cbranch_execz .LBB30_114
; %bb.113:
	v_lshlrev_b32_e32 v1, 2, v1
	global_load_dword v10, v1, s[34:35]
	global_load_dword v18, v1, s[36:37]
	s_waitcnt vmcnt(0)
	v_sub_f32_e32 v1, v18, v10
	v_and_b32_e32 v10, 0x7fffffff, v1
.LBB30_114:
	s_or_b64 exec, exec, s[18:19]
	v_or_b32_e32 v1, 0x480, v0
	v_cmp_gt_u32_e64 s[18:19], s40, v1
	s_and_saveexec_b64 s[20:21], s[18:19]
	s_cbranch_execz .LBB30_116
; %bb.115:
	v_lshlrev_b32_e32 v1, 2, v1
	global_load_dword v11, v1, s[34:35]
	global_load_dword v18, v1, s[36:37]
	s_waitcnt vmcnt(0)
	v_sub_f32_e32 v1, v18, v11
	v_and_b32_e32 v11, 0x7fffffff, v1
.LBB30_116:
	s_or_b64 exec, exec, s[20:21]
	v_or_b32_e32 v1, 0x500, v0
	v_cmp_gt_u32_e64 s[20:21], s40, v1
	s_and_saveexec_b64 s[22:23], s[20:21]
	;; [unrolled: 13-line block ×6, first 2 shown]
	s_cbranch_execz .LBB30_126
; %bb.125:
	v_lshlrev_b32_e32 v1, 2, v1
	global_load_dword v16, v1, s[34:35]
	s_nop 0
	global_load_dword v1, v1, s[36:37]
	s_waitcnt vmcnt(0)
	v_sub_f32_e32 v1, v1, v16
	v_and_b32_e32 v16, 0x7fffffff, v1
.LBB30_126:
	s_or_b64 exec, exec, s[30:31]
	v_or_b32_e32 v1, 0x780, v0
	v_cmp_gt_u32_e64 s[30:31], s40, v1
	s_and_saveexec_b64 s[38:39], s[30:31]
	s_cbranch_execz .LBB30_128
; %bb.127:
	v_lshlrev_b32_e32 v1, 2, v1
	global_load_dword v17, v1, s[34:35]
	s_nop 0
	global_load_dword v1, v1, s[36:37]
	s_waitcnt vmcnt(0)
	v_sub_f32_e32 v1, v1, v17
	v_and_b32_e32 v17, 0x7fffffff, v1
.LBB30_128:
	s_or_b64 exec, exec, s[38:39]
	v_cmp_lt_f32_e64 s[34:35], v2, v3
	s_and_b64 vcc, vcc, s[34:35]
	v_cndmask_b32_e32 v1, v2, v3, vcc
	v_cmp_lt_f32_e32 vcc, v1, v4
	s_and_b64 vcc, s[0:1], vcc
	v_cndmask_b32_e32 v1, v1, v4, vcc
	v_cmp_lt_f32_e32 vcc, v1, v5
	s_and_b64 vcc, s[2:3], vcc
	;; [unrolled: 3-line block ×13, first 2 shown]
	v_cndmask_b32_e32 v1, v1, v16, vcc
	v_mbcnt_lo_u32_b32 v2, -1, 0
	v_cmp_lt_f32_e32 vcc, v1, v17
	v_mbcnt_hi_u32_b32 v2, -1, v2
	s_and_b64 vcc, s[30:31], vcc
	v_and_b32_e32 v3, 63, v2
	v_cndmask_b32_e32 v1, v1, v17, vcc
	v_cmp_ne_u32_e32 vcc, 63, v3
	v_addc_co_u32_e32 v4, vcc, 0, v2, vcc
	v_lshlrev_b32_e32 v4, 2, v4
	ds_bpermute_b32 v4, v4, v1
	s_min_u32 s8, s40, 0x80
	v_and_b32_e32 v5, 64, v0
	v_sub_u32_e64 v5, s8, v5 clamp
	v_add_u32_e32 v6, 1, v3
	s_waitcnt lgkmcnt(0)
	v_cmp_lt_f32_e32 vcc, v1, v4
	v_cmp_gt_u32_e64 s[0:1], 62, v3
	v_cndmask_b32_e32 v4, v1, v4, vcc
	v_cmp_lt_u32_e32 vcc, v6, v5
	v_cndmask_b32_e64 v6, 0, 1, s[0:1]
	v_lshlrev_b32_e32 v6, 1, v6
	v_cndmask_b32_e32 v4, v1, v4, vcc
	v_add_lshl_u32 v6, v6, v2, 2
	ds_bpermute_b32 v6, v6, v4
	v_add_u32_e32 v7, 2, v3
	s_waitcnt lgkmcnt(0)
	v_cmp_lt_f32_e64 s[0:1], v4, v6
	v_cndmask_b32_e64 v6, v4, v6, s[0:1]
	v_cmp_lt_u32_e64 s[0:1], v7, v5
	v_cndmask_b32_e64 v4, v4, v6, s[0:1]
	v_cmp_gt_u32_e64 s[0:1], 60, v3
	v_cndmask_b32_e64 v6, 0, 1, s[0:1]
	v_lshlrev_b32_e32 v6, 2, v6
	v_add_lshl_u32 v6, v6, v2, 2
	ds_bpermute_b32 v6, v6, v4
	v_add_u32_e32 v7, 4, v3
	s_waitcnt lgkmcnt(0)
	v_cmp_lt_f32_e64 s[0:1], v4, v6
	v_cndmask_b32_e64 v6, v4, v6, s[0:1]
	v_cmp_lt_u32_e64 s[0:1], v7, v5
	v_cndmask_b32_e64 v4, v4, v6, s[0:1]
	v_cmp_gt_u32_e64 s[0:1], 56, v3
	v_cndmask_b32_e64 v6, 0, 1, s[0:1]
	v_lshlrev_b32_e32 v6, 3, v6
	;; [unrolled: 11-line block ×4, first 2 shown]
	v_add_lshl_u32 v6, v6, v2, 2
	ds_bpermute_b32 v6, v6, v4
	v_add_u32_e32 v3, 32, v3
	v_cmp_lt_u32_e64 s[0:1], v3, v5
	s_waitcnt lgkmcnt(0)
	v_cmp_lt_f32_e64 s[2:3], v4, v6
	s_and_b64 s[0:1], s[0:1], s[2:3]
	v_cndmask_b32_e64 v3, v4, v6, s[0:1]
	v_cndmask_b32_e32 v1, v1, v3, vcc
	v_cmp_eq_u32_e32 vcc, 0, v2
	s_and_saveexec_b64 s[0:1], vcc
	s_cbranch_execz .LBB30_130
; %bb.129:
	v_lshrrev_b32_e32 v3, 4, v0
	v_and_b32_e32 v3, 4, v3
	ds_write_b32 v3, v1 offset:48
.LBB30_130:
	s_or_b64 exec, exec, s[0:1]
	v_cmp_gt_u32_e32 vcc, 2, v0
	s_waitcnt lgkmcnt(0)
	s_barrier
	s_and_saveexec_b64 s[2:3], vcc
	s_cbranch_execz .LBB30_132
; %bb.131:
	v_lshlrev_b32_e32 v1, 2, v2
	ds_read_b32 v3, v1 offset:48
	v_or_b32_e32 v1, 4, v1
	s_add_i32 s8, s8, 63
	v_and_b32_e32 v2, 1, v2
	s_lshr_b32 s0, s8, 6
	s_waitcnt lgkmcnt(0)
	ds_bpermute_b32 v1, v1, v3
	v_add_u32_e32 v2, 1, v2
	v_cmp_gt_u32_e32 vcc, s0, v2
	s_waitcnt lgkmcnt(0)
	v_cmp_lt_f32_e64 s[0:1], v3, v1
	s_and_b64 vcc, vcc, s[0:1]
	v_cndmask_b32_e32 v1, v3, v1, vcc
.LBB30_132:
	s_or_b64 exec, exec, s[2:3]
.LBB30_133:
	v_cmp_eq_u32_e64 s[0:1], 0, v0
	s_branch .LBB30_142
.LBB30_134:
	s_cmp_eq_u32 s33, 8
	s_cbranch_scc0 .LBB30_141
; %bb.135:
	s_mov_b32 s7, 0
	s_lshl_b32 s0, s6, 10
	s_mov_b32 s1, s7
	s_lshr_b64 s[2:3], s[68:69], 10
	s_lshl_b64 s[8:9], s[0:1], 2
	s_add_u32 s16, s72, s8
	s_addc_u32 s17, s73, s9
	s_add_u32 s18, s74, s8
	s_addc_u32 s19, s75, s9
	s_cmp_lg_u64 s[2:3], s[6:7]
	s_cbranch_scc0 .LBB30_143
; %bb.136:
	v_lshlrev_b32_e32 v1, 2, v0
	global_load_dword v4, v1, s[16:17]
	global_load_dword v5, v1, s[16:17] offset:512
	global_load_dword v8, v1, s[16:17] offset:1024
	;; [unrolled: 1-line block ×7, first 2 shown]
	global_load_dword v6, v1, s[18:19]
	global_load_dword v7, v1, s[18:19] offset:512
	global_load_dword v14, v1, s[18:19] offset:1024
	;; [unrolled: 1-line block ×6, first 2 shown]
	s_nop 0
	global_load_dword v1, v1, s[18:19] offset:3584
	v_mbcnt_lo_u32_b32 v2, -1, 0
	v_mbcnt_hi_u32_b32 v2, -1, v2
	v_lshlrev_b32_e32 v3, 2, v2
	s_waitcnt vmcnt(6)
	v_pk_add_f32 v[4:5], v[6:7], v[4:5] neg_lo:[0,1] neg_hi:[0,1]
	v_cmp_lt_f32_e64 vcc, |v4|, |v5|
	s_waitcnt vmcnt(5)
	v_sub_f32_e32 v6, v14, v8
	v_cndmask_b32_e32 v4, v4, v5, vcc
	v_cmp_lt_f32_e64 vcc, |v4|, |v6|
	s_waitcnt vmcnt(4)
	v_sub_f32_e32 v7, v15, v9
	v_cndmask_b32_e32 v4, v4, v6, vcc
	;; [unrolled: 4-line block ×6, first 2 shown]
	v_cmp_lt_f32_e64 s[2:3], |v4|, |v1|
	v_cndmask_b32_e64 v1, |v4|, |v1|, s[2:3]
	s_nop 1
	v_mov_b32_dpp v4, v1 quad_perm:[1,0,3,2] row_mask:0xf bank_mask:0xf bound_ctrl:1
	v_cmp_gt_f32_e32 vcc, v1, v4
	v_cndmask_b32_e32 v1, v4, v1, vcc
	s_nop 1
	v_mov_b32_dpp v4, v1 quad_perm:[2,3,0,1] row_mask:0xf bank_mask:0xf bound_ctrl:1
	v_cmp_gt_f32_e32 vcc, v1, v4
	v_cndmask_b32_e32 v1, v4, v1, vcc
	s_nop 1
	v_mov_b32_dpp v4, v1 row_ror:4 row_mask:0xf bank_mask:0xf bound_ctrl:1
	v_cmp_gt_f32_e32 vcc, v1, v4
	v_cndmask_b32_e32 v1, v4, v1, vcc
	s_nop 1
	v_mov_b32_dpp v4, v1 row_ror:8 row_mask:0xf bank_mask:0xf bound_ctrl:1
	v_cmp_gt_f32_e32 vcc, v1, v4
	v_cndmask_b32_e32 v1, v4, v1, vcc
	s_nop 1
	v_mov_b32_dpp v4, v1 row_bcast:15 row_mask:0xf bank_mask:0xf bound_ctrl:1
	v_cmp_gt_f32_e32 vcc, v1, v4
	v_cndmask_b32_e32 v1, v4, v1, vcc
	s_nop 1
	v_mov_b32_dpp v4, v1 row_bcast:31 row_mask:0xf bank_mask:0xf bound_ctrl:1
	v_cmp_gt_f32_e32 vcc, v1, v4
	v_cndmask_b32_e32 v1, v4, v1, vcc
	v_or_b32_e32 v4, 0xfc, v3
	ds_bpermute_b32 v1, v4, v1
	v_cmp_eq_u32_e32 vcc, 0, v2
	s_and_saveexec_b64 s[2:3], vcc
	s_cbranch_execz .LBB30_138
; %bb.137:
	v_lshrrev_b32_e32 v4, 4, v0
	v_and_b32_e32 v4, 4, v4
	s_waitcnt lgkmcnt(0)
	ds_write_b32 v4, v1 offset:40
.LBB30_138:
	s_or_b64 exec, exec, s[2:3]
	v_cmp_gt_u32_e32 vcc, 64, v0
	s_waitcnt lgkmcnt(0)
	s_barrier
	s_and_saveexec_b64 s[2:3], vcc
	s_cbranch_execz .LBB30_140
; %bb.139:
	v_and_b32_e32 v1, 1, v2
	v_lshlrev_b32_e32 v1, 2, v1
	ds_read_b32 v1, v1 offset:40
	v_or_b32_e32 v2, 4, v3
	s_waitcnt lgkmcnt(0)
	ds_bpermute_b32 v2, v2, v1
	s_waitcnt lgkmcnt(0)
	v_cmp_lt_f32_e32 vcc, v1, v2
	v_cndmask_b32_e32 v1, v1, v2, vcc
.LBB30_140:
	s_or_b64 exec, exec, s[2:3]
	s_branch .LBB30_165
.LBB30_141:
                                        ; implicit-def: $vgpr1
.LBB30_142:
	s_branch .LBB30_224
.LBB30_143:
                                        ; implicit-def: $vgpr1
	s_cbranch_execz .LBB30_165
; %bb.144:
	s_sub_i32 s22, s68, s0
	v_cmp_gt_u32_e32 vcc, s22, v0
                                        ; implicit-def: $vgpr2_vgpr3_vgpr4_vgpr5_vgpr6_vgpr7_vgpr8_vgpr9
	s_and_saveexec_b64 s[0:1], vcc
	s_cbranch_execz .LBB30_146
; %bb.145:
	v_lshlrev_b32_e32 v1, 2, v0
	global_load_dword v2, v1, s[16:17]
	global_load_dword v3, v1, s[18:19]
	s_waitcnt vmcnt(0)
	v_sub_f32_e32 v1, v3, v2
	v_and_b32_e32 v2, 0x7fffffff, v1
.LBB30_146:
	s_or_b64 exec, exec, s[0:1]
	v_or_b32_e32 v1, 0x80, v0
	v_cmp_gt_u32_e32 vcc, s22, v1
	s_and_saveexec_b64 s[0:1], vcc
	s_cbranch_execz .LBB30_148
; %bb.147:
	v_lshlrev_b32_e32 v1, 2, v0
	global_load_dword v3, v1, s[16:17] offset:512
	global_load_dword v10, v1, s[18:19] offset:512
	s_waitcnt vmcnt(0)
	v_sub_f32_e32 v1, v10, v3
	v_and_b32_e32 v3, 0x7fffffff, v1
.LBB30_148:
	s_or_b64 exec, exec, s[0:1]
	v_or_b32_e32 v1, 0x100, v0
	v_cmp_gt_u32_e64 s[0:1], s22, v1
	s_and_saveexec_b64 s[2:3], s[0:1]
	s_cbranch_execz .LBB30_150
; %bb.149:
	v_lshlrev_b32_e32 v1, 2, v0
	global_load_dword v4, v1, s[16:17] offset:1024
	global_load_dword v10, v1, s[18:19] offset:1024
	s_waitcnt vmcnt(0)
	v_sub_f32_e32 v1, v10, v4
	v_and_b32_e32 v4, 0x7fffffff, v1
.LBB30_150:
	s_or_b64 exec, exec, s[2:3]
	v_or_b32_e32 v1, 0x180, v0
	v_cmp_gt_u32_e64 s[2:3], s22, v1
	s_and_saveexec_b64 s[8:9], s[2:3]
	;; [unrolled: 13-line block ×6, first 2 shown]
	s_cbranch_execz .LBB30_160
; %bb.159:
	v_lshlrev_b32_e32 v1, 2, v0
	global_load_dword v9, v1, s[16:17] offset:3584
	global_load_dword v10, v1, s[18:19] offset:3584
	s_waitcnt vmcnt(0)
	v_sub_f32_e32 v1, v10, v9
	v_and_b32_e32 v9, 0x7fffffff, v1
.LBB30_160:
	s_or_b64 exec, exec, s[20:21]
	v_cmp_lt_f32_e64 s[16:17], v2, v3
	s_and_b64 vcc, vcc, s[16:17]
	v_cndmask_b32_e32 v1, v2, v3, vcc
	v_cmp_lt_f32_e32 vcc, v1, v4
	s_and_b64 vcc, s[0:1], vcc
	v_cndmask_b32_e32 v1, v1, v4, vcc
	v_cmp_lt_f32_e32 vcc, v1, v5
	s_and_b64 vcc, s[2:3], vcc
	;; [unrolled: 3-line block ×5, first 2 shown]
	v_cndmask_b32_e32 v1, v1, v8, vcc
	v_mbcnt_lo_u32_b32 v2, -1, 0
	v_cmp_lt_f32_e32 vcc, v1, v9
	v_mbcnt_hi_u32_b32 v2, -1, v2
	s_and_b64 vcc, s[14:15], vcc
	v_and_b32_e32 v3, 63, v2
	v_cndmask_b32_e32 v1, v1, v9, vcc
	v_cmp_ne_u32_e32 vcc, 63, v3
	v_addc_co_u32_e32 v4, vcc, 0, v2, vcc
	v_lshlrev_b32_e32 v4, 2, v4
	ds_bpermute_b32 v4, v4, v1
	s_min_u32 s8, s22, 0x80
	v_and_b32_e32 v5, 64, v0
	v_sub_u32_e64 v5, s8, v5 clamp
	v_add_u32_e32 v6, 1, v3
	s_waitcnt lgkmcnt(0)
	v_cmp_lt_f32_e32 vcc, v1, v4
	v_cmp_gt_u32_e64 s[0:1], 62, v3
	v_cndmask_b32_e32 v4, v1, v4, vcc
	v_cmp_lt_u32_e32 vcc, v6, v5
	v_cndmask_b32_e64 v6, 0, 1, s[0:1]
	v_lshlrev_b32_e32 v6, 1, v6
	v_cndmask_b32_e32 v4, v1, v4, vcc
	v_add_lshl_u32 v6, v6, v2, 2
	ds_bpermute_b32 v6, v6, v4
	v_add_u32_e32 v7, 2, v3
	s_waitcnt lgkmcnt(0)
	v_cmp_lt_f32_e64 s[0:1], v4, v6
	v_cndmask_b32_e64 v6, v4, v6, s[0:1]
	v_cmp_lt_u32_e64 s[0:1], v7, v5
	v_cndmask_b32_e64 v4, v4, v6, s[0:1]
	v_cmp_gt_u32_e64 s[0:1], 60, v3
	v_cndmask_b32_e64 v6, 0, 1, s[0:1]
	v_lshlrev_b32_e32 v6, 2, v6
	v_add_lshl_u32 v6, v6, v2, 2
	ds_bpermute_b32 v6, v6, v4
	v_add_u32_e32 v7, 4, v3
	s_waitcnt lgkmcnt(0)
	v_cmp_lt_f32_e64 s[0:1], v4, v6
	v_cndmask_b32_e64 v6, v4, v6, s[0:1]
	v_cmp_lt_u32_e64 s[0:1], v7, v5
	v_cndmask_b32_e64 v4, v4, v6, s[0:1]
	v_cmp_gt_u32_e64 s[0:1], 56, v3
	v_cndmask_b32_e64 v6, 0, 1, s[0:1]
	v_lshlrev_b32_e32 v6, 3, v6
	;; [unrolled: 11-line block ×4, first 2 shown]
	v_add_lshl_u32 v6, v6, v2, 2
	ds_bpermute_b32 v6, v6, v4
	v_add_u32_e32 v3, 32, v3
	v_cmp_lt_u32_e64 s[0:1], v3, v5
	s_waitcnt lgkmcnt(0)
	v_cmp_lt_f32_e64 s[2:3], v4, v6
	s_and_b64 s[0:1], s[0:1], s[2:3]
	v_cndmask_b32_e64 v3, v4, v6, s[0:1]
	v_cndmask_b32_e32 v1, v1, v3, vcc
	v_cmp_eq_u32_e32 vcc, 0, v2
	s_and_saveexec_b64 s[0:1], vcc
	s_cbranch_execz .LBB30_162
; %bb.161:
	v_lshrrev_b32_e32 v3, 4, v0
	v_and_b32_e32 v3, 4, v3
	ds_write_b32 v3, v1 offset:48
.LBB30_162:
	s_or_b64 exec, exec, s[0:1]
	v_cmp_gt_u32_e32 vcc, 2, v0
	s_waitcnt lgkmcnt(0)
	s_barrier
	s_and_saveexec_b64 s[2:3], vcc
	s_cbranch_execz .LBB30_164
; %bb.163:
	v_lshlrev_b32_e32 v1, 2, v2
	ds_read_b32 v3, v1 offset:48
	v_or_b32_e32 v1, 4, v1
	s_add_i32 s8, s8, 63
	v_and_b32_e32 v2, 1, v2
	s_lshr_b32 s0, s8, 6
	s_waitcnt lgkmcnt(0)
	ds_bpermute_b32 v1, v1, v3
	v_add_u32_e32 v2, 1, v2
	v_cmp_gt_u32_e32 vcc, s0, v2
	s_waitcnt lgkmcnt(0)
	v_cmp_lt_f32_e64 s[0:1], v3, v1
	s_and_b64 vcc, vcc, s[0:1]
	v_cndmask_b32_e32 v1, v3, v1, vcc
.LBB30_164:
	s_or_b64 exec, exec, s[2:3]
.LBB30_165:
	v_cmp_eq_u32_e64 s[0:1], 0, v0
	s_branch .LBB30_224
.LBB30_166:
	s_cmp_gt_i32 s33, 1
	s_cbranch_scc0 .LBB30_175
; %bb.167:
	s_cmp_gt_i32 s33, 3
	s_cbranch_scc0 .LBB30_176
; %bb.168:
	s_cmp_eq_u32 s33, 4
	s_cbranch_scc0 .LBB30_177
; %bb.169:
	s_mov_b32 s7, 0
	s_lshl_b32 s0, s6, 9
	s_mov_b32 s1, s7
	s_lshr_b64 s[2:3], s[68:69], 9
	s_lshl_b64 s[10:11], s[0:1], 2
	s_add_u32 s8, s72, s10
	s_addc_u32 s9, s73, s11
	s_add_u32 s10, s74, s10
	s_addc_u32 s11, s75, s11
	s_cmp_lg_u64 s[2:3], s[6:7]
	s_cbranch_scc0 .LBB30_179
; %bb.170:
	v_lshlrev_b32_e32 v1, 2, v0
	global_load_dword v4, v1, s[8:9]
	global_load_dword v5, v1, s[8:9] offset:512
	global_load_dword v8, v1, s[8:9] offset:1024
	global_load_dword v6, v1, s[10:11]
	global_load_dword v7, v1, s[10:11] offset:512
	global_load_dword v9, v1, s[10:11] offset:1024
	;; [unrolled: 1-line block ×4, first 2 shown]
	v_mbcnt_lo_u32_b32 v1, -1, 0
	v_mbcnt_hi_u32_b32 v2, -1, v1
	v_lshlrev_b32_e32 v3, 2, v2
	s_waitcnt vmcnt(3)
	v_pk_add_f32 v[4:5], v[6:7], v[4:5] neg_lo:[0,1] neg_hi:[0,1]
	v_cmp_lt_f32_e64 vcc, |v4|, |v5|
	s_waitcnt vmcnt(2)
	v_sub_f32_e32 v1, v9, v8
	v_cndmask_b32_e32 v4, v4, v5, vcc
	v_cmp_lt_f32_e64 vcc, |v4|, |v1|
	s_waitcnt vmcnt(0)
	v_sub_f32_e32 v6, v10, v11
	v_cndmask_b32_e32 v1, v4, v1, vcc
	v_cmp_lt_f32_e64 s[2:3], |v1|, |v6|
	v_cndmask_b32_e64 v1, |v1|, |v6|, s[2:3]
	s_nop 1
	v_mov_b32_dpp v4, v1 quad_perm:[1,0,3,2] row_mask:0xf bank_mask:0xf bound_ctrl:1
	v_cmp_gt_f32_e32 vcc, v1, v4
	v_cndmask_b32_e32 v1, v4, v1, vcc
	s_nop 1
	v_mov_b32_dpp v4, v1 quad_perm:[2,3,0,1] row_mask:0xf bank_mask:0xf bound_ctrl:1
	v_cmp_gt_f32_e32 vcc, v1, v4
	v_cndmask_b32_e32 v1, v4, v1, vcc
	s_nop 1
	v_mov_b32_dpp v4, v1 row_ror:4 row_mask:0xf bank_mask:0xf bound_ctrl:1
	v_cmp_gt_f32_e32 vcc, v1, v4
	v_cndmask_b32_e32 v1, v4, v1, vcc
	s_nop 1
	v_mov_b32_dpp v4, v1 row_ror:8 row_mask:0xf bank_mask:0xf bound_ctrl:1
	v_cmp_gt_f32_e32 vcc, v1, v4
	v_cndmask_b32_e32 v1, v4, v1, vcc
	s_nop 1
	v_mov_b32_dpp v4, v1 row_bcast:15 row_mask:0xf bank_mask:0xf bound_ctrl:1
	v_cmp_gt_f32_e32 vcc, v1, v4
	v_cndmask_b32_e32 v1, v4, v1, vcc
	s_nop 1
	v_mov_b32_dpp v4, v1 row_bcast:31 row_mask:0xf bank_mask:0xf bound_ctrl:1
	v_cmp_gt_f32_e32 vcc, v1, v4
	v_cndmask_b32_e32 v1, v4, v1, vcc
	v_or_b32_e32 v4, 0xfc, v3
	ds_bpermute_b32 v1, v4, v1
	v_cmp_eq_u32_e32 vcc, 0, v2
	s_and_saveexec_b64 s[2:3], vcc
	s_cbranch_execz .LBB30_172
; %bb.171:
	v_lshrrev_b32_e32 v4, 4, v0
	v_and_b32_e32 v4, 4, v4
	s_waitcnt lgkmcnt(0)
	ds_write_b32 v4, v1 offset:32
.LBB30_172:
	s_or_b64 exec, exec, s[2:3]
	v_cmp_gt_u32_e32 vcc, 64, v0
	s_waitcnt lgkmcnt(0)
	s_barrier
	s_and_saveexec_b64 s[2:3], vcc
	s_cbranch_execz .LBB30_174
; %bb.173:
	v_and_b32_e32 v1, 1, v2
	v_lshlrev_b32_e32 v1, 2, v1
	ds_read_b32 v1, v1 offset:32
	v_or_b32_e32 v2, 4, v3
	s_waitcnt lgkmcnt(0)
	ds_bpermute_b32 v2, v2, v1
	s_waitcnt lgkmcnt(0)
	v_cmp_lt_f32_e32 vcc, v1, v2
	v_cndmask_b32_e32 v1, v1, v2, vcc
.LBB30_174:
	s_or_b64 exec, exec, s[2:3]
	s_mov_b64 s[2:3], 0
	s_branch .LBB30_180
.LBB30_175:
                                        ; implicit-def: $vgpr1
	s_cbranch_execnz .LBB30_215
	s_branch .LBB30_224
.LBB30_176:
                                        ; implicit-def: $vgpr1
	s_cbranch_execz .LBB30_178
	s_branch .LBB30_195
.LBB30_177:
                                        ; implicit-def: $vgpr1
.LBB30_178:
	s_branch .LBB30_224
.LBB30_179:
	s_mov_b64 s[2:3], -1
                                        ; implicit-def: $vgpr1
.LBB30_180:
	s_and_b64 vcc, exec, s[2:3]
	s_cbranch_vccz .LBB30_194
; %bb.181:
	s_sub_i32 s14, s68, s0
	v_cmp_gt_u32_e32 vcc, s14, v0
                                        ; implicit-def: $vgpr2_vgpr3_vgpr4_vgpr5
	s_and_saveexec_b64 s[0:1], vcc
	s_cbranch_execz .LBB30_183
; %bb.182:
	v_lshlrev_b32_e32 v1, 2, v0
	global_load_dword v2, v1, s[8:9]
	global_load_dword v3, v1, s[10:11]
	s_waitcnt vmcnt(0)
	v_sub_f32_e32 v1, v3, v2
	v_and_b32_e32 v2, 0x7fffffff, v1
.LBB30_183:
	s_or_b64 exec, exec, s[0:1]
	v_or_b32_e32 v1, 0x80, v0
	v_cmp_gt_u32_e32 vcc, s14, v1
	s_and_saveexec_b64 s[0:1], vcc
	s_cbranch_execz .LBB30_185
; %bb.184:
	v_lshlrev_b32_e32 v1, 2, v0
	global_load_dword v3, v1, s[8:9] offset:512
	global_load_dword v6, v1, s[10:11] offset:512
	s_waitcnt vmcnt(0)
	v_sub_f32_e32 v1, v6, v3
	v_and_b32_e32 v3, 0x7fffffff, v1
.LBB30_185:
	s_or_b64 exec, exec, s[0:1]
	v_or_b32_e32 v1, 0x100, v0
	v_cmp_gt_u32_e64 s[0:1], s14, v1
	s_and_saveexec_b64 s[2:3], s[0:1]
	s_cbranch_execz .LBB30_187
; %bb.186:
	v_lshlrev_b32_e32 v1, 2, v0
	global_load_dword v4, v1, s[8:9] offset:1024
	global_load_dword v6, v1, s[10:11] offset:1024
	s_waitcnt vmcnt(0)
	v_sub_f32_e32 v1, v6, v4
	v_and_b32_e32 v4, 0x7fffffff, v1
.LBB30_187:
	s_or_b64 exec, exec, s[2:3]
	v_or_b32_e32 v1, 0x180, v0
	v_cmp_gt_u32_e64 s[2:3], s14, v1
	s_and_saveexec_b64 s[12:13], s[2:3]
	s_cbranch_execz .LBB30_189
; %bb.188:
	v_lshlrev_b32_e32 v1, 2, v0
	global_load_dword v5, v1, s[8:9] offset:1536
	global_load_dword v6, v1, s[10:11] offset:1536
	s_waitcnt vmcnt(0)
	v_sub_f32_e32 v1, v6, v5
	v_and_b32_e32 v5, 0x7fffffff, v1
.LBB30_189:
	s_or_b64 exec, exec, s[12:13]
	v_cmp_lt_f32_e64 s[8:9], v2, v3
	s_and_b64 vcc, vcc, s[8:9]
	v_cndmask_b32_e32 v1, v2, v3, vcc
	v_cmp_lt_f32_e32 vcc, v1, v4
	s_and_b64 vcc, s[0:1], vcc
	v_cndmask_b32_e32 v1, v1, v4, vcc
	v_mbcnt_lo_u32_b32 v2, -1, 0
	v_cmp_lt_f32_e32 vcc, v1, v5
	v_mbcnt_hi_u32_b32 v2, -1, v2
	s_and_b64 vcc, s[2:3], vcc
	v_and_b32_e32 v3, 63, v2
	v_cndmask_b32_e32 v1, v1, v5, vcc
	v_cmp_ne_u32_e32 vcc, 63, v3
	v_addc_co_u32_e32 v4, vcc, 0, v2, vcc
	v_lshlrev_b32_e32 v4, 2, v4
	ds_bpermute_b32 v4, v4, v1
	s_min_u32 s8, s14, 0x80
	v_and_b32_e32 v5, 64, v0
	v_sub_u32_e64 v5, s8, v5 clamp
	v_add_u32_e32 v6, 1, v3
	s_waitcnt lgkmcnt(0)
	v_cmp_lt_f32_e32 vcc, v1, v4
	v_cmp_gt_u32_e64 s[0:1], 62, v3
	v_cndmask_b32_e32 v4, v1, v4, vcc
	v_cmp_lt_u32_e32 vcc, v6, v5
	v_cndmask_b32_e64 v6, 0, 1, s[0:1]
	v_lshlrev_b32_e32 v6, 1, v6
	v_cndmask_b32_e32 v4, v1, v4, vcc
	v_add_lshl_u32 v6, v6, v2, 2
	ds_bpermute_b32 v6, v6, v4
	v_add_u32_e32 v7, 2, v3
	s_waitcnt lgkmcnt(0)
	v_cmp_lt_f32_e64 s[0:1], v4, v6
	v_cndmask_b32_e64 v6, v4, v6, s[0:1]
	v_cmp_lt_u32_e64 s[0:1], v7, v5
	v_cndmask_b32_e64 v4, v4, v6, s[0:1]
	v_cmp_gt_u32_e64 s[0:1], 60, v3
	v_cndmask_b32_e64 v6, 0, 1, s[0:1]
	v_lshlrev_b32_e32 v6, 2, v6
	v_add_lshl_u32 v6, v6, v2, 2
	ds_bpermute_b32 v6, v6, v4
	v_add_u32_e32 v7, 4, v3
	s_waitcnt lgkmcnt(0)
	v_cmp_lt_f32_e64 s[0:1], v4, v6
	v_cndmask_b32_e64 v6, v4, v6, s[0:1]
	v_cmp_lt_u32_e64 s[0:1], v7, v5
	v_cndmask_b32_e64 v4, v4, v6, s[0:1]
	v_cmp_gt_u32_e64 s[0:1], 56, v3
	v_cndmask_b32_e64 v6, 0, 1, s[0:1]
	v_lshlrev_b32_e32 v6, 3, v6
	;; [unrolled: 11-line block ×4, first 2 shown]
	v_add_lshl_u32 v6, v6, v2, 2
	ds_bpermute_b32 v6, v6, v4
	v_add_u32_e32 v3, 32, v3
	v_cmp_lt_u32_e64 s[0:1], v3, v5
	s_waitcnt lgkmcnt(0)
	v_cmp_lt_f32_e64 s[2:3], v4, v6
	s_and_b64 s[0:1], s[0:1], s[2:3]
	v_cndmask_b32_e64 v3, v4, v6, s[0:1]
	v_cndmask_b32_e32 v1, v1, v3, vcc
	v_cmp_eq_u32_e32 vcc, 0, v2
	s_and_saveexec_b64 s[0:1], vcc
	s_cbranch_execz .LBB30_191
; %bb.190:
	v_lshrrev_b32_e32 v3, 4, v0
	v_and_b32_e32 v3, 4, v3
	ds_write_b32 v3, v1 offset:48
.LBB30_191:
	s_or_b64 exec, exec, s[0:1]
	v_cmp_gt_u32_e32 vcc, 2, v0
	s_waitcnt lgkmcnt(0)
	s_barrier
	s_and_saveexec_b64 s[2:3], vcc
	s_cbranch_execz .LBB30_193
; %bb.192:
	v_lshlrev_b32_e32 v1, 2, v2
	ds_read_b32 v3, v1 offset:48
	v_or_b32_e32 v1, 4, v1
	s_add_i32 s8, s8, 63
	v_and_b32_e32 v2, 1, v2
	s_lshr_b32 s0, s8, 6
	s_waitcnt lgkmcnt(0)
	ds_bpermute_b32 v1, v1, v3
	v_add_u32_e32 v2, 1, v2
	v_cmp_gt_u32_e32 vcc, s0, v2
	s_waitcnt lgkmcnt(0)
	v_cmp_lt_f32_e64 s[0:1], v3, v1
	s_and_b64 vcc, vcc, s[0:1]
	v_cndmask_b32_e32 v1, v3, v1, vcc
.LBB30_193:
	s_or_b64 exec, exec, s[2:3]
.LBB30_194:
	v_cmp_eq_u32_e64 s[0:1], 0, v0
	s_branch .LBB30_178
.LBB30_195:
	s_cmp_eq_u32 s33, 2
	s_cbranch_scc0 .LBB30_202
; %bb.196:
	s_mov_b32 s7, 0
	s_lshl_b32 s8, s6, 8
	s_mov_b32 s9, s7
	s_lshr_b64 s[10:11], s[68:69], 8
	s_lshl_b64 s[2:3], s[8:9], 2
	s_add_u32 s0, s72, s2
	s_addc_u32 s1, s73, s3
	s_add_u32 s2, s74, s2
	s_addc_u32 s3, s75, s3
	s_cmp_lg_u64 s[10:11], s[6:7]
	s_cbranch_scc0 .LBB30_203
; %bb.197:
	v_lshlrev_b32_e32 v1, 2, v0
	global_load_dword v4, v1, s[0:1]
	global_load_dword v7, v1, s[2:3] offset:512
	global_load_dword v6, v1, s[2:3]
	global_load_dword v5, v1, s[0:1] offset:512
	v_mbcnt_lo_u32_b32 v1, -1, 0
	v_mbcnt_hi_u32_b32 v2, -1, v1
	v_lshlrev_b32_e32 v3, 2, v2
	s_waitcnt vmcnt(0)
	v_pk_add_f32 v[4:5], v[6:7], v[4:5] neg_lo:[0,1] neg_hi:[0,1]
	v_cmp_lt_f32_e64 s[10:11], |v4|, |v5|
	v_cndmask_b32_e64 v1, |v4|, |v5|, s[10:11]
	s_nop 1
	v_mov_b32_dpp v4, v1 quad_perm:[1,0,3,2] row_mask:0xf bank_mask:0xf bound_ctrl:1
	v_cmp_gt_f32_e32 vcc, v1, v4
	v_cndmask_b32_e32 v1, v4, v1, vcc
	s_nop 1
	v_mov_b32_dpp v4, v1 quad_perm:[2,3,0,1] row_mask:0xf bank_mask:0xf bound_ctrl:1
	v_cmp_gt_f32_e32 vcc, v1, v4
	v_cndmask_b32_e32 v1, v4, v1, vcc
	s_nop 1
	v_mov_b32_dpp v4, v1 row_ror:4 row_mask:0xf bank_mask:0xf bound_ctrl:1
	v_cmp_gt_f32_e32 vcc, v1, v4
	v_cndmask_b32_e32 v1, v4, v1, vcc
	s_nop 1
	v_mov_b32_dpp v4, v1 row_ror:8 row_mask:0xf bank_mask:0xf bound_ctrl:1
	v_cmp_gt_f32_e32 vcc, v1, v4
	v_cndmask_b32_e32 v1, v4, v1, vcc
	s_nop 1
	v_mov_b32_dpp v4, v1 row_bcast:15 row_mask:0xf bank_mask:0xf bound_ctrl:1
	v_cmp_gt_f32_e32 vcc, v1, v4
	v_cndmask_b32_e32 v1, v4, v1, vcc
	s_nop 1
	v_mov_b32_dpp v4, v1 row_bcast:31 row_mask:0xf bank_mask:0xf bound_ctrl:1
	v_cmp_gt_f32_e32 vcc, v1, v4
	v_cndmask_b32_e32 v1, v4, v1, vcc
	v_or_b32_e32 v4, 0xfc, v3
	ds_bpermute_b32 v1, v4, v1
	v_cmp_eq_u32_e32 vcc, 0, v2
	s_and_saveexec_b64 s[10:11], vcc
	s_cbranch_execz .LBB30_199
; %bb.198:
	v_lshrrev_b32_e32 v4, 4, v0
	v_and_b32_e32 v4, 4, v4
	s_waitcnt lgkmcnt(0)
	ds_write_b32 v4, v1 offset:16
.LBB30_199:
	s_or_b64 exec, exec, s[10:11]
	v_cmp_gt_u32_e32 vcc, 64, v0
	s_waitcnt lgkmcnt(0)
	s_barrier
	s_and_saveexec_b64 s[10:11], vcc
	s_cbranch_execz .LBB30_201
; %bb.200:
	v_and_b32_e32 v1, 1, v2
	v_lshlrev_b32_e32 v1, 2, v1
	ds_read_b32 v1, v1 offset:16
	v_or_b32_e32 v2, 4, v3
	s_waitcnt lgkmcnt(0)
	ds_bpermute_b32 v2, v2, v1
	s_waitcnt lgkmcnt(0)
	v_cmp_lt_f32_e32 vcc, v1, v2
	v_cndmask_b32_e32 v1, v1, v2, vcc
.LBB30_201:
	s_or_b64 exec, exec, s[10:11]
	s_mov_b64 s[10:11], 0
	s_branch .LBB30_204
.LBB30_202:
                                        ; implicit-def: $vgpr1
	s_branch .LBB30_224
.LBB30_203:
	s_mov_b64 s[10:11], -1
                                        ; implicit-def: $vgpr1
.LBB30_204:
	s_and_b64 vcc, exec, s[10:11]
	s_cbranch_vccz .LBB30_214
; %bb.205:
	s_sub_i32 s10, s68, s8
	v_cmp_gt_u32_e32 vcc, s10, v0
                                        ; implicit-def: $vgpr2_vgpr3
	s_and_saveexec_b64 s[8:9], vcc
	s_cbranch_execz .LBB30_207
; %bb.206:
	v_lshlrev_b32_e32 v1, 2, v0
	global_load_dword v2, v1, s[0:1]
	global_load_dword v3, v1, s[2:3]
	s_waitcnt vmcnt(0)
	v_sub_f32_e32 v1, v3, v2
	v_and_b32_e32 v2, 0x7fffffff, v1
.LBB30_207:
	s_or_b64 exec, exec, s[8:9]
	v_or_b32_e32 v1, 0x80, v0
	v_cmp_gt_u32_e32 vcc, s10, v1
	s_and_saveexec_b64 s[8:9], vcc
	s_cbranch_execz .LBB30_209
; %bb.208:
	v_lshlrev_b32_e32 v1, 2, v0
	global_load_dword v3, v1, s[0:1] offset:512
	global_load_dword v4, v1, s[2:3] offset:512
	s_waitcnt vmcnt(0)
	v_sub_f32_e32 v1, v4, v3
	v_and_b32_e32 v3, 0x7fffffff, v1
.LBB30_209:
	s_or_b64 exec, exec, s[8:9]
	v_cmp_lt_f32_e64 s[0:1], v2, v3
	s_and_b64 vcc, vcc, s[0:1]
	v_cndmask_b32_e32 v1, v2, v3, vcc
	v_mbcnt_lo_u32_b32 v2, -1, 0
	v_mbcnt_hi_u32_b32 v2, -1, v2
	v_and_b32_e32 v3, 63, v2
	v_cmp_ne_u32_e32 vcc, 63, v3
	v_addc_co_u32_e32 v4, vcc, 0, v2, vcc
	v_lshlrev_b32_e32 v4, 2, v4
	ds_bpermute_b32 v4, v4, v1
	s_min_u32 s8, s10, 0x80
	v_and_b32_e32 v5, 64, v0
	v_sub_u32_e64 v5, s8, v5 clamp
	v_add_u32_e32 v6, 1, v3
	s_waitcnt lgkmcnt(0)
	v_cmp_lt_f32_e32 vcc, v1, v4
	v_cmp_gt_u32_e64 s[0:1], 62, v3
	v_cndmask_b32_e32 v4, v1, v4, vcc
	v_cmp_lt_u32_e32 vcc, v6, v5
	v_cndmask_b32_e64 v6, 0, 1, s[0:1]
	v_lshlrev_b32_e32 v6, 1, v6
	v_cndmask_b32_e32 v4, v1, v4, vcc
	v_add_lshl_u32 v6, v6, v2, 2
	ds_bpermute_b32 v6, v6, v4
	v_add_u32_e32 v7, 2, v3
	s_waitcnt lgkmcnt(0)
	v_cmp_lt_f32_e64 s[0:1], v4, v6
	v_cndmask_b32_e64 v6, v4, v6, s[0:1]
	v_cmp_lt_u32_e64 s[0:1], v7, v5
	v_cndmask_b32_e64 v4, v4, v6, s[0:1]
	v_cmp_gt_u32_e64 s[0:1], 60, v3
	v_cndmask_b32_e64 v6, 0, 1, s[0:1]
	v_lshlrev_b32_e32 v6, 2, v6
	v_add_lshl_u32 v6, v6, v2, 2
	ds_bpermute_b32 v6, v6, v4
	v_add_u32_e32 v7, 4, v3
	s_waitcnt lgkmcnt(0)
	v_cmp_lt_f32_e64 s[0:1], v4, v6
	v_cndmask_b32_e64 v6, v4, v6, s[0:1]
	v_cmp_lt_u32_e64 s[0:1], v7, v5
	v_cndmask_b32_e64 v4, v4, v6, s[0:1]
	v_cmp_gt_u32_e64 s[0:1], 56, v3
	v_cndmask_b32_e64 v6, 0, 1, s[0:1]
	v_lshlrev_b32_e32 v6, 3, v6
	v_add_lshl_u32 v6, v6, v2, 2
	ds_bpermute_b32 v6, v6, v4
	v_add_u32_e32 v7, 8, v3
	s_waitcnt lgkmcnt(0)
	v_cmp_lt_f32_e64 s[0:1], v4, v6
	v_cndmask_b32_e64 v6, v4, v6, s[0:1]
	v_cmp_lt_u32_e64 s[0:1], v7, v5
	v_cndmask_b32_e64 v4, v4, v6, s[0:1]
	v_cmp_gt_u32_e64 s[0:1], 48, v3
	v_cndmask_b32_e64 v6, 0, 1, s[0:1]
	v_lshlrev_b32_e32 v6, 4, v6
	v_add_lshl_u32 v6, v6, v2, 2
	ds_bpermute_b32 v6, v6, v4
	v_add_u32_e32 v7, 16, v3
	s_waitcnt lgkmcnt(0)
	v_cmp_lt_f32_e64 s[0:1], v4, v6
	v_cndmask_b32_e64 v6, v4, v6, s[0:1]
	v_cmp_lt_u32_e64 s[0:1], v7, v5
	v_cndmask_b32_e64 v4, v4, v6, s[0:1]
	v_cmp_gt_u32_e64 s[0:1], 32, v3
	v_cndmask_b32_e64 v6, 0, 1, s[0:1]
	v_lshlrev_b32_e32 v6, 5, v6
	v_add_lshl_u32 v6, v6, v2, 2
	ds_bpermute_b32 v6, v6, v4
	v_add_u32_e32 v3, 32, v3
	v_cmp_lt_u32_e64 s[0:1], v3, v5
	s_waitcnt lgkmcnt(0)
	v_cmp_lt_f32_e64 s[2:3], v4, v6
	s_and_b64 s[0:1], s[0:1], s[2:3]
	v_cndmask_b32_e64 v3, v4, v6, s[0:1]
	v_cndmask_b32_e32 v1, v1, v3, vcc
	v_cmp_eq_u32_e32 vcc, 0, v2
	s_and_saveexec_b64 s[0:1], vcc
	s_cbranch_execz .LBB30_211
; %bb.210:
	v_lshrrev_b32_e32 v3, 4, v0
	v_and_b32_e32 v3, 4, v3
	ds_write_b32 v3, v1 offset:48
.LBB30_211:
	s_or_b64 exec, exec, s[0:1]
	v_cmp_gt_u32_e32 vcc, 2, v0
	s_waitcnt lgkmcnt(0)
	s_barrier
	s_and_saveexec_b64 s[2:3], vcc
	s_cbranch_execz .LBB30_213
; %bb.212:
	v_lshlrev_b32_e32 v1, 2, v2
	ds_read_b32 v3, v1 offset:48
	v_or_b32_e32 v1, 4, v1
	s_add_i32 s8, s8, 63
	v_and_b32_e32 v2, 1, v2
	s_lshr_b32 s0, s8, 6
	s_waitcnt lgkmcnt(0)
	ds_bpermute_b32 v1, v1, v3
	v_add_u32_e32 v2, 1, v2
	v_cmp_gt_u32_e32 vcc, s0, v2
	s_waitcnt lgkmcnt(0)
	v_cmp_lt_f32_e64 s[0:1], v3, v1
	s_and_b64 vcc, vcc, s[0:1]
	v_cndmask_b32_e32 v1, v3, v1, vcc
.LBB30_213:
	s_or_b64 exec, exec, s[2:3]
.LBB30_214:
	v_cmp_eq_u32_e64 s[0:1], 0, v0
	s_branch .LBB30_224
.LBB30_215:
	s_cmp_eq_u32 s33, 1
	s_cbranch_scc0 .LBB30_223
; %bb.216:
	s_mov_b32 s1, 0
	s_lshl_b32 s0, s6, 7
	s_mov_b32 s7, s1
	s_lshr_b64 s[2:3], s[68:69], 7
	s_cmp_lg_u64 s[2:3], s[6:7]
	v_mbcnt_lo_u32_b32 v2, -1, 0
	s_cbranch_scc0 .LBB30_227
; %bb.217:
	s_lshl_b64 s[2:3], s[0:1], 2
	s_add_u32 s8, s72, s2
	s_addc_u32 s9, s73, s3
	s_add_u32 s2, s74, s2
	v_lshlrev_b32_e32 v1, 2, v0
	s_addc_u32 s3, s75, s3
	global_load_dword v5, v1, s[8:9]
	global_load_dword v6, v1, s[2:3]
	v_mbcnt_hi_u32_b32 v3, -1, v2
	v_lshlrev_b32_e32 v4, 2, v3
	s_waitcnt vmcnt(0)
	v_sub_f32_e32 v1, v6, v5
	v_and_b32_e32 v5, 0x7fffffff, v1
	s_nop 1
	v_mov_b32_dpp v5, v5 quad_perm:[1,0,3,2] row_mask:0xf bank_mask:0xf bound_ctrl:1
	v_cmp_gt_f32_e64 s[2:3], |v1|, v5
	v_cndmask_b32_e64 v1, v5, |v1|, s[2:3]
	s_nop 1
	v_mov_b32_dpp v5, v1 quad_perm:[2,3,0,1] row_mask:0xf bank_mask:0xf bound_ctrl:1
	v_cmp_gt_f32_e32 vcc, v1, v5
	v_cndmask_b32_e32 v1, v5, v1, vcc
	s_nop 1
	v_mov_b32_dpp v5, v1 row_ror:4 row_mask:0xf bank_mask:0xf bound_ctrl:1
	v_cmp_gt_f32_e32 vcc, v1, v5
	v_cndmask_b32_e32 v1, v5, v1, vcc
	s_nop 1
	v_mov_b32_dpp v5, v1 row_ror:8 row_mask:0xf bank_mask:0xf bound_ctrl:1
	v_cmp_gt_f32_e32 vcc, v1, v5
	v_cndmask_b32_e32 v1, v5, v1, vcc
	s_nop 1
	v_mov_b32_dpp v5, v1 row_bcast:15 row_mask:0xf bank_mask:0xf bound_ctrl:1
	v_cmp_gt_f32_e32 vcc, v1, v5
	v_cndmask_b32_e32 v1, v5, v1, vcc
	s_nop 1
	v_mov_b32_dpp v5, v1 row_bcast:31 row_mask:0xf bank_mask:0xf bound_ctrl:1
	v_cmp_gt_f32_e32 vcc, v1, v5
	v_cndmask_b32_e32 v1, v5, v1, vcc
	v_or_b32_e32 v5, 0xfc, v4
	ds_bpermute_b32 v1, v5, v1
	v_cmp_eq_u32_e32 vcc, 0, v3
	s_and_saveexec_b64 s[2:3], vcc
	s_cbranch_execz .LBB30_219
; %bb.218:
	v_lshrrev_b32_e32 v5, 4, v0
	v_and_b32_e32 v5, 4, v5
	s_waitcnt lgkmcnt(0)
	ds_write_b32 v5, v1 offset:8
.LBB30_219:
	s_or_b64 exec, exec, s[2:3]
	v_cmp_gt_u32_e32 vcc, 64, v0
	s_waitcnt lgkmcnt(0)
	s_barrier
	s_and_saveexec_b64 s[2:3], vcc
	s_cbranch_execz .LBB30_221
; %bb.220:
	v_and_b32_e32 v1, 1, v3
	v_lshlrev_b32_e32 v1, 2, v1
	ds_read_b32 v1, v1 offset:8
	v_or_b32_e32 v3, 4, v4
	s_waitcnt lgkmcnt(0)
	ds_bpermute_b32 v3, v3, v1
	s_waitcnt lgkmcnt(0)
	v_cmp_lt_f32_e32 vcc, v1, v3
	v_cndmask_b32_e32 v1, v1, v3, vcc
.LBB30_221:
	s_or_b64 exec, exec, s[2:3]
.LBB30_222:
	v_cmp_eq_u32_e64 s[0:1], 0, v0
	s_and_saveexec_b64 s[2:3], s[0:1]
	s_cbranch_execnz .LBB30_225
	s_branch .LBB30_226
.LBB30_223:
                                        ; implicit-def: $vgpr1
                                        ; implicit-def: $sgpr6_sgpr7
.LBB30_224:
	s_and_saveexec_b64 s[2:3], s[0:1]
	s_cbranch_execz .LBB30_226
.LBB30_225:
	s_load_dword s2, s[4:5], 0x30
	s_lshl_b64 s[0:1], s[6:7], 2
	s_add_u32 s0, s70, s0
	s_addc_u32 s1, s71, s1
	s_cmp_eq_u64 s[68:69], 0
	s_waitcnt lgkmcnt(0)
	v_mov_b32_e32 v2, s2
	v_cmp_lt_f32_e32 vcc, s2, v1
	v_cndmask_b32_e32 v1, v2, v1, vcc
	s_cselect_b64 vcc, -1, 0
	v_mov_b32_e32 v0, 0
	v_cndmask_b32_e32 v1, v1, v2, vcc
	global_store_dword v0, v1, s[0:1]
.LBB30_226:
	s_endpgm
.LBB30_227:
                                        ; implicit-def: $vgpr1
	s_cbranch_execz .LBB30_222
; %bb.228:
	s_sub_i32 s8, s68, s0
	v_cmp_gt_u32_e32 vcc, s8, v0
                                        ; implicit-def: $vgpr1
	s_and_saveexec_b64 s[2:3], vcc
	s_cbranch_execz .LBB30_230
; %bb.229:
	s_lshl_b64 s[0:1], s[0:1], 2
	s_add_u32 s10, s72, s0
	s_addc_u32 s11, s73, s1
	v_lshlrev_b32_e32 v1, 2, v0
	s_add_u32 s0, s74, s0
	s_addc_u32 s1, s75, s1
	global_load_dword v3, v1, s[10:11]
	global_load_dword v4, v1, s[0:1]
	s_waitcnt vmcnt(0)
	v_sub_f32_e32 v1, v4, v3
	v_and_b32_e32 v1, 0x7fffffff, v1
.LBB30_230:
	s_or_b64 exec, exec, s[2:3]
	v_mbcnt_hi_u32_b32 v2, -1, v2
	v_and_b32_e32 v3, 63, v2
	v_cmp_ne_u32_e32 vcc, 63, v3
	v_addc_co_u32_e32 v4, vcc, 0, v2, vcc
	v_lshlrev_b32_e32 v4, 2, v4
	ds_bpermute_b32 v4, v4, v1
	s_min_u32 s8, s8, 0x80
	v_and_b32_e32 v5, 64, v0
	v_sub_u32_e64 v5, s8, v5 clamp
	v_add_u32_e32 v6, 1, v3
	s_waitcnt lgkmcnt(0)
	v_cmp_lt_f32_e32 vcc, v1, v4
	v_cmp_gt_u32_e64 s[0:1], 62, v3
	v_cndmask_b32_e32 v4, v1, v4, vcc
	v_cmp_lt_u32_e32 vcc, v6, v5
	v_cndmask_b32_e64 v6, 0, 1, s[0:1]
	v_lshlrev_b32_e32 v6, 1, v6
	v_cndmask_b32_e32 v4, v1, v4, vcc
	v_add_lshl_u32 v6, v6, v2, 2
	ds_bpermute_b32 v6, v6, v4
	v_add_u32_e32 v7, 2, v3
	s_waitcnt lgkmcnt(0)
	v_cmp_lt_f32_e64 s[0:1], v4, v6
	v_cndmask_b32_e64 v6, v4, v6, s[0:1]
	v_cmp_lt_u32_e64 s[0:1], v7, v5
	v_cndmask_b32_e64 v4, v4, v6, s[0:1]
	v_cmp_gt_u32_e64 s[0:1], 60, v3
	v_cndmask_b32_e64 v6, 0, 1, s[0:1]
	v_lshlrev_b32_e32 v6, 2, v6
	v_add_lshl_u32 v6, v6, v2, 2
	ds_bpermute_b32 v6, v6, v4
	v_add_u32_e32 v7, 4, v3
	s_waitcnt lgkmcnt(0)
	v_cmp_lt_f32_e64 s[0:1], v4, v6
	v_cndmask_b32_e64 v6, v4, v6, s[0:1]
	v_cmp_lt_u32_e64 s[0:1], v7, v5
	v_cndmask_b32_e64 v4, v4, v6, s[0:1]
	v_cmp_gt_u32_e64 s[0:1], 56, v3
	v_cndmask_b32_e64 v6, 0, 1, s[0:1]
	v_lshlrev_b32_e32 v6, 3, v6
	;; [unrolled: 11-line block ×4, first 2 shown]
	v_add_lshl_u32 v6, v6, v2, 2
	ds_bpermute_b32 v6, v6, v4
	v_add_u32_e32 v3, 32, v3
	v_cmp_lt_u32_e64 s[0:1], v3, v5
	s_waitcnt lgkmcnt(0)
	v_cmp_lt_f32_e64 s[2:3], v4, v6
	s_and_b64 s[0:1], s[0:1], s[2:3]
	v_cndmask_b32_e64 v3, v4, v6, s[0:1]
	v_cndmask_b32_e32 v1, v1, v3, vcc
	v_cmp_eq_u32_e32 vcc, 0, v2
	s_and_saveexec_b64 s[0:1], vcc
	s_cbranch_execz .LBB30_232
; %bb.231:
	v_lshrrev_b32_e32 v3, 4, v0
	v_and_b32_e32 v3, 4, v3
	ds_write_b32 v3, v1 offset:48
.LBB30_232:
	s_or_b64 exec, exec, s[0:1]
	v_cmp_gt_u32_e32 vcc, 2, v0
	s_waitcnt lgkmcnt(0)
	s_barrier
	s_and_saveexec_b64 s[2:3], vcc
	s_cbranch_execz .LBB30_234
; %bb.233:
	v_lshlrev_b32_e32 v1, 2, v2
	ds_read_b32 v3, v1 offset:48
	v_or_b32_e32 v1, 4, v1
	s_add_i32 s8, s8, 63
	v_and_b32_e32 v2, 1, v2
	s_lshr_b32 s0, s8, 6
	s_waitcnt lgkmcnt(0)
	ds_bpermute_b32 v1, v1, v3
	v_add_u32_e32 v2, 1, v2
	v_cmp_gt_u32_e32 vcc, s0, v2
	s_waitcnt lgkmcnt(0)
	v_cmp_lt_f32_e64 s[0:1], v3, v1
	s_and_b64 vcc, vcc, s[0:1]
	v_cndmask_b32_e32 v1, v3, v1, vcc
.LBB30_234:
	s_or_b64 exec, exec, s[2:3]
	v_cmp_eq_u32_e64 s[0:1], 0, v0
	s_and_saveexec_b64 s[2:3], s[0:1]
	s_cbranch_execnz .LBB30_225
	s_branch .LBB30_226
	.section	.rodata,"a",@progbits
	.p2align	6, 0x0
	.amdhsa_kernel _ZN7rocprim17ROCPRIM_400000_NS6detail17trampoline_kernelINS0_14default_configENS1_22reduce_config_selectorIfEEZNS1_11reduce_implILb1ES3_N6thrust23THRUST_200600_302600_NS11hip_rocprim35transform_pair_of_input_iterators_tIfNS8_6detail15normal_iteratorINS8_10device_ptrIfEEEESF_8abs_diffIfEEEPffNS8_7maximumIfEEEE10hipError_tPvRmT1_T2_T3_mT4_P12ihipStream_tbEUlT_E1_NS1_11comp_targetILNS1_3genE4ELNS1_11target_archE910ELNS1_3gpuE8ELNS1_3repE0EEENS1_30default_config_static_selectorELNS0_4arch9wavefront6targetE1EEEvSP_
		.amdhsa_group_segment_fixed_size 56
		.amdhsa_private_segment_fixed_size 0
		.amdhsa_kernarg_size 56
		.amdhsa_user_sgpr_count 6
		.amdhsa_user_sgpr_private_segment_buffer 1
		.amdhsa_user_sgpr_dispatch_ptr 0
		.amdhsa_user_sgpr_queue_ptr 0
		.amdhsa_user_sgpr_kernarg_segment_ptr 1
		.amdhsa_user_sgpr_dispatch_id 0
		.amdhsa_user_sgpr_flat_scratch_init 0
		.amdhsa_user_sgpr_kernarg_preload_length 0
		.amdhsa_user_sgpr_kernarg_preload_offset 0
		.amdhsa_user_sgpr_private_segment_size 0
		.amdhsa_uses_dynamic_stack 0
		.amdhsa_system_sgpr_private_segment_wavefront_offset 0
		.amdhsa_system_sgpr_workgroup_id_x 1
		.amdhsa_system_sgpr_workgroup_id_y 0
		.amdhsa_system_sgpr_workgroup_id_z 0
		.amdhsa_system_sgpr_workgroup_info 0
		.amdhsa_system_vgpr_workitem_id 0
		.amdhsa_next_free_vgpr 38
		.amdhsa_next_free_sgpr 83
		.amdhsa_accum_offset 40
		.amdhsa_reserve_vcc 1
		.amdhsa_reserve_flat_scratch 0
		.amdhsa_float_round_mode_32 0
		.amdhsa_float_round_mode_16_64 0
		.amdhsa_float_denorm_mode_32 3
		.amdhsa_float_denorm_mode_16_64 3
		.amdhsa_dx10_clamp 1
		.amdhsa_ieee_mode 1
		.amdhsa_fp16_overflow 0
		.amdhsa_tg_split 0
		.amdhsa_exception_fp_ieee_invalid_op 0
		.amdhsa_exception_fp_denorm_src 0
		.amdhsa_exception_fp_ieee_div_zero 0
		.amdhsa_exception_fp_ieee_overflow 0
		.amdhsa_exception_fp_ieee_underflow 0
		.amdhsa_exception_fp_ieee_inexact 0
		.amdhsa_exception_int_div_zero 0
	.end_amdhsa_kernel
	.section	.text._ZN7rocprim17ROCPRIM_400000_NS6detail17trampoline_kernelINS0_14default_configENS1_22reduce_config_selectorIfEEZNS1_11reduce_implILb1ES3_N6thrust23THRUST_200600_302600_NS11hip_rocprim35transform_pair_of_input_iterators_tIfNS8_6detail15normal_iteratorINS8_10device_ptrIfEEEESF_8abs_diffIfEEEPffNS8_7maximumIfEEEE10hipError_tPvRmT1_T2_T3_mT4_P12ihipStream_tbEUlT_E1_NS1_11comp_targetILNS1_3genE4ELNS1_11target_archE910ELNS1_3gpuE8ELNS1_3repE0EEENS1_30default_config_static_selectorELNS0_4arch9wavefront6targetE1EEEvSP_,"axG",@progbits,_ZN7rocprim17ROCPRIM_400000_NS6detail17trampoline_kernelINS0_14default_configENS1_22reduce_config_selectorIfEEZNS1_11reduce_implILb1ES3_N6thrust23THRUST_200600_302600_NS11hip_rocprim35transform_pair_of_input_iterators_tIfNS8_6detail15normal_iteratorINS8_10device_ptrIfEEEESF_8abs_diffIfEEEPffNS8_7maximumIfEEEE10hipError_tPvRmT1_T2_T3_mT4_P12ihipStream_tbEUlT_E1_NS1_11comp_targetILNS1_3genE4ELNS1_11target_archE910ELNS1_3gpuE8ELNS1_3repE0EEENS1_30default_config_static_selectorELNS0_4arch9wavefront6targetE1EEEvSP_,comdat
.Lfunc_end30:
	.size	_ZN7rocprim17ROCPRIM_400000_NS6detail17trampoline_kernelINS0_14default_configENS1_22reduce_config_selectorIfEEZNS1_11reduce_implILb1ES3_N6thrust23THRUST_200600_302600_NS11hip_rocprim35transform_pair_of_input_iterators_tIfNS8_6detail15normal_iteratorINS8_10device_ptrIfEEEESF_8abs_diffIfEEEPffNS8_7maximumIfEEEE10hipError_tPvRmT1_T2_T3_mT4_P12ihipStream_tbEUlT_E1_NS1_11comp_targetILNS1_3genE4ELNS1_11target_archE910ELNS1_3gpuE8ELNS1_3repE0EEENS1_30default_config_static_selectorELNS0_4arch9wavefront6targetE1EEEvSP_, .Lfunc_end30-_ZN7rocprim17ROCPRIM_400000_NS6detail17trampoline_kernelINS0_14default_configENS1_22reduce_config_selectorIfEEZNS1_11reduce_implILb1ES3_N6thrust23THRUST_200600_302600_NS11hip_rocprim35transform_pair_of_input_iterators_tIfNS8_6detail15normal_iteratorINS8_10device_ptrIfEEEESF_8abs_diffIfEEEPffNS8_7maximumIfEEEE10hipError_tPvRmT1_T2_T3_mT4_P12ihipStream_tbEUlT_E1_NS1_11comp_targetILNS1_3genE4ELNS1_11target_archE910ELNS1_3gpuE8ELNS1_3repE0EEENS1_30default_config_static_selectorELNS0_4arch9wavefront6targetE1EEEvSP_
                                        ; -- End function
	.section	.AMDGPU.csdata,"",@progbits
; Kernel info:
; codeLenInByte = 12956
; NumSgprs: 87
; NumVgprs: 38
; NumAgprs: 0
; TotalNumVgprs: 38
; ScratchSize: 0
; MemoryBound: 0
; FloatMode: 240
; IeeeMode: 1
; LDSByteSize: 56 bytes/workgroup (compile time only)
; SGPRBlocks: 10
; VGPRBlocks: 4
; NumSGPRsForWavesPerEU: 87
; NumVGPRsForWavesPerEU: 38
; AccumOffset: 40
; Occupancy: 8
; WaveLimiterHint : 0
; COMPUTE_PGM_RSRC2:SCRATCH_EN: 0
; COMPUTE_PGM_RSRC2:USER_SGPR: 6
; COMPUTE_PGM_RSRC2:TRAP_HANDLER: 0
; COMPUTE_PGM_RSRC2:TGID_X_EN: 1
; COMPUTE_PGM_RSRC2:TGID_Y_EN: 0
; COMPUTE_PGM_RSRC2:TGID_Z_EN: 0
; COMPUTE_PGM_RSRC2:TIDIG_COMP_CNT: 0
; COMPUTE_PGM_RSRC3_GFX90A:ACCUM_OFFSET: 9
; COMPUTE_PGM_RSRC3_GFX90A:TG_SPLIT: 0
	.section	.text._ZN7rocprim17ROCPRIM_400000_NS6detail17trampoline_kernelINS0_14default_configENS1_22reduce_config_selectorIfEEZNS1_11reduce_implILb1ES3_N6thrust23THRUST_200600_302600_NS11hip_rocprim35transform_pair_of_input_iterators_tIfNS8_6detail15normal_iteratorINS8_10device_ptrIfEEEESF_8abs_diffIfEEEPffNS8_7maximumIfEEEE10hipError_tPvRmT1_T2_T3_mT4_P12ihipStream_tbEUlT_E1_NS1_11comp_targetILNS1_3genE3ELNS1_11target_archE908ELNS1_3gpuE7ELNS1_3repE0EEENS1_30default_config_static_selectorELNS0_4arch9wavefront6targetE1EEEvSP_,"axG",@progbits,_ZN7rocprim17ROCPRIM_400000_NS6detail17trampoline_kernelINS0_14default_configENS1_22reduce_config_selectorIfEEZNS1_11reduce_implILb1ES3_N6thrust23THRUST_200600_302600_NS11hip_rocprim35transform_pair_of_input_iterators_tIfNS8_6detail15normal_iteratorINS8_10device_ptrIfEEEESF_8abs_diffIfEEEPffNS8_7maximumIfEEEE10hipError_tPvRmT1_T2_T3_mT4_P12ihipStream_tbEUlT_E1_NS1_11comp_targetILNS1_3genE3ELNS1_11target_archE908ELNS1_3gpuE7ELNS1_3repE0EEENS1_30default_config_static_selectorELNS0_4arch9wavefront6targetE1EEEvSP_,comdat
	.protected	_ZN7rocprim17ROCPRIM_400000_NS6detail17trampoline_kernelINS0_14default_configENS1_22reduce_config_selectorIfEEZNS1_11reduce_implILb1ES3_N6thrust23THRUST_200600_302600_NS11hip_rocprim35transform_pair_of_input_iterators_tIfNS8_6detail15normal_iteratorINS8_10device_ptrIfEEEESF_8abs_diffIfEEEPffNS8_7maximumIfEEEE10hipError_tPvRmT1_T2_T3_mT4_P12ihipStream_tbEUlT_E1_NS1_11comp_targetILNS1_3genE3ELNS1_11target_archE908ELNS1_3gpuE7ELNS1_3repE0EEENS1_30default_config_static_selectorELNS0_4arch9wavefront6targetE1EEEvSP_ ; -- Begin function _ZN7rocprim17ROCPRIM_400000_NS6detail17trampoline_kernelINS0_14default_configENS1_22reduce_config_selectorIfEEZNS1_11reduce_implILb1ES3_N6thrust23THRUST_200600_302600_NS11hip_rocprim35transform_pair_of_input_iterators_tIfNS8_6detail15normal_iteratorINS8_10device_ptrIfEEEESF_8abs_diffIfEEEPffNS8_7maximumIfEEEE10hipError_tPvRmT1_T2_T3_mT4_P12ihipStream_tbEUlT_E1_NS1_11comp_targetILNS1_3genE3ELNS1_11target_archE908ELNS1_3gpuE7ELNS1_3repE0EEENS1_30default_config_static_selectorELNS0_4arch9wavefront6targetE1EEEvSP_
	.globl	_ZN7rocprim17ROCPRIM_400000_NS6detail17trampoline_kernelINS0_14default_configENS1_22reduce_config_selectorIfEEZNS1_11reduce_implILb1ES3_N6thrust23THRUST_200600_302600_NS11hip_rocprim35transform_pair_of_input_iterators_tIfNS8_6detail15normal_iteratorINS8_10device_ptrIfEEEESF_8abs_diffIfEEEPffNS8_7maximumIfEEEE10hipError_tPvRmT1_T2_T3_mT4_P12ihipStream_tbEUlT_E1_NS1_11comp_targetILNS1_3genE3ELNS1_11target_archE908ELNS1_3gpuE7ELNS1_3repE0EEENS1_30default_config_static_selectorELNS0_4arch9wavefront6targetE1EEEvSP_
	.p2align	8
	.type	_ZN7rocprim17ROCPRIM_400000_NS6detail17trampoline_kernelINS0_14default_configENS1_22reduce_config_selectorIfEEZNS1_11reduce_implILb1ES3_N6thrust23THRUST_200600_302600_NS11hip_rocprim35transform_pair_of_input_iterators_tIfNS8_6detail15normal_iteratorINS8_10device_ptrIfEEEESF_8abs_diffIfEEEPffNS8_7maximumIfEEEE10hipError_tPvRmT1_T2_T3_mT4_P12ihipStream_tbEUlT_E1_NS1_11comp_targetILNS1_3genE3ELNS1_11target_archE908ELNS1_3gpuE7ELNS1_3repE0EEENS1_30default_config_static_selectorELNS0_4arch9wavefront6targetE1EEEvSP_,@function
_ZN7rocprim17ROCPRIM_400000_NS6detail17trampoline_kernelINS0_14default_configENS1_22reduce_config_selectorIfEEZNS1_11reduce_implILb1ES3_N6thrust23THRUST_200600_302600_NS11hip_rocprim35transform_pair_of_input_iterators_tIfNS8_6detail15normal_iteratorINS8_10device_ptrIfEEEESF_8abs_diffIfEEEPffNS8_7maximumIfEEEE10hipError_tPvRmT1_T2_T3_mT4_P12ihipStream_tbEUlT_E1_NS1_11comp_targetILNS1_3genE3ELNS1_11target_archE908ELNS1_3gpuE7ELNS1_3repE0EEENS1_30default_config_static_selectorELNS0_4arch9wavefront6targetE1EEEvSP_: ; @_ZN7rocprim17ROCPRIM_400000_NS6detail17trampoline_kernelINS0_14default_configENS1_22reduce_config_selectorIfEEZNS1_11reduce_implILb1ES3_N6thrust23THRUST_200600_302600_NS11hip_rocprim35transform_pair_of_input_iterators_tIfNS8_6detail15normal_iteratorINS8_10device_ptrIfEEEESF_8abs_diffIfEEEPffNS8_7maximumIfEEEE10hipError_tPvRmT1_T2_T3_mT4_P12ihipStream_tbEUlT_E1_NS1_11comp_targetILNS1_3genE3ELNS1_11target_archE908ELNS1_3gpuE7ELNS1_3repE0EEENS1_30default_config_static_selectorELNS0_4arch9wavefront6targetE1EEEvSP_
; %bb.0:
	.section	.rodata,"a",@progbits
	.p2align	6, 0x0
	.amdhsa_kernel _ZN7rocprim17ROCPRIM_400000_NS6detail17trampoline_kernelINS0_14default_configENS1_22reduce_config_selectorIfEEZNS1_11reduce_implILb1ES3_N6thrust23THRUST_200600_302600_NS11hip_rocprim35transform_pair_of_input_iterators_tIfNS8_6detail15normal_iteratorINS8_10device_ptrIfEEEESF_8abs_diffIfEEEPffNS8_7maximumIfEEEE10hipError_tPvRmT1_T2_T3_mT4_P12ihipStream_tbEUlT_E1_NS1_11comp_targetILNS1_3genE3ELNS1_11target_archE908ELNS1_3gpuE7ELNS1_3repE0EEENS1_30default_config_static_selectorELNS0_4arch9wavefront6targetE1EEEvSP_
		.amdhsa_group_segment_fixed_size 0
		.amdhsa_private_segment_fixed_size 0
		.amdhsa_kernarg_size 56
		.amdhsa_user_sgpr_count 6
		.amdhsa_user_sgpr_private_segment_buffer 1
		.amdhsa_user_sgpr_dispatch_ptr 0
		.amdhsa_user_sgpr_queue_ptr 0
		.amdhsa_user_sgpr_kernarg_segment_ptr 1
		.amdhsa_user_sgpr_dispatch_id 0
		.amdhsa_user_sgpr_flat_scratch_init 0
		.amdhsa_user_sgpr_kernarg_preload_length 0
		.amdhsa_user_sgpr_kernarg_preload_offset 0
		.amdhsa_user_sgpr_private_segment_size 0
		.amdhsa_uses_dynamic_stack 0
		.amdhsa_system_sgpr_private_segment_wavefront_offset 0
		.amdhsa_system_sgpr_workgroup_id_x 1
		.amdhsa_system_sgpr_workgroup_id_y 0
		.amdhsa_system_sgpr_workgroup_id_z 0
		.amdhsa_system_sgpr_workgroup_info 0
		.amdhsa_system_vgpr_workitem_id 0
		.amdhsa_next_free_vgpr 1
		.amdhsa_next_free_sgpr 0
		.amdhsa_accum_offset 4
		.amdhsa_reserve_vcc 0
		.amdhsa_reserve_flat_scratch 0
		.amdhsa_float_round_mode_32 0
		.amdhsa_float_round_mode_16_64 0
		.amdhsa_float_denorm_mode_32 3
		.amdhsa_float_denorm_mode_16_64 3
		.amdhsa_dx10_clamp 1
		.amdhsa_ieee_mode 1
		.amdhsa_fp16_overflow 0
		.amdhsa_tg_split 0
		.amdhsa_exception_fp_ieee_invalid_op 0
		.amdhsa_exception_fp_denorm_src 0
		.amdhsa_exception_fp_ieee_div_zero 0
		.amdhsa_exception_fp_ieee_overflow 0
		.amdhsa_exception_fp_ieee_underflow 0
		.amdhsa_exception_fp_ieee_inexact 0
		.amdhsa_exception_int_div_zero 0
	.end_amdhsa_kernel
	.section	.text._ZN7rocprim17ROCPRIM_400000_NS6detail17trampoline_kernelINS0_14default_configENS1_22reduce_config_selectorIfEEZNS1_11reduce_implILb1ES3_N6thrust23THRUST_200600_302600_NS11hip_rocprim35transform_pair_of_input_iterators_tIfNS8_6detail15normal_iteratorINS8_10device_ptrIfEEEESF_8abs_diffIfEEEPffNS8_7maximumIfEEEE10hipError_tPvRmT1_T2_T3_mT4_P12ihipStream_tbEUlT_E1_NS1_11comp_targetILNS1_3genE3ELNS1_11target_archE908ELNS1_3gpuE7ELNS1_3repE0EEENS1_30default_config_static_selectorELNS0_4arch9wavefront6targetE1EEEvSP_,"axG",@progbits,_ZN7rocprim17ROCPRIM_400000_NS6detail17trampoline_kernelINS0_14default_configENS1_22reduce_config_selectorIfEEZNS1_11reduce_implILb1ES3_N6thrust23THRUST_200600_302600_NS11hip_rocprim35transform_pair_of_input_iterators_tIfNS8_6detail15normal_iteratorINS8_10device_ptrIfEEEESF_8abs_diffIfEEEPffNS8_7maximumIfEEEE10hipError_tPvRmT1_T2_T3_mT4_P12ihipStream_tbEUlT_E1_NS1_11comp_targetILNS1_3genE3ELNS1_11target_archE908ELNS1_3gpuE7ELNS1_3repE0EEENS1_30default_config_static_selectorELNS0_4arch9wavefront6targetE1EEEvSP_,comdat
.Lfunc_end31:
	.size	_ZN7rocprim17ROCPRIM_400000_NS6detail17trampoline_kernelINS0_14default_configENS1_22reduce_config_selectorIfEEZNS1_11reduce_implILb1ES3_N6thrust23THRUST_200600_302600_NS11hip_rocprim35transform_pair_of_input_iterators_tIfNS8_6detail15normal_iteratorINS8_10device_ptrIfEEEESF_8abs_diffIfEEEPffNS8_7maximumIfEEEE10hipError_tPvRmT1_T2_T3_mT4_P12ihipStream_tbEUlT_E1_NS1_11comp_targetILNS1_3genE3ELNS1_11target_archE908ELNS1_3gpuE7ELNS1_3repE0EEENS1_30default_config_static_selectorELNS0_4arch9wavefront6targetE1EEEvSP_, .Lfunc_end31-_ZN7rocprim17ROCPRIM_400000_NS6detail17trampoline_kernelINS0_14default_configENS1_22reduce_config_selectorIfEEZNS1_11reduce_implILb1ES3_N6thrust23THRUST_200600_302600_NS11hip_rocprim35transform_pair_of_input_iterators_tIfNS8_6detail15normal_iteratorINS8_10device_ptrIfEEEESF_8abs_diffIfEEEPffNS8_7maximumIfEEEE10hipError_tPvRmT1_T2_T3_mT4_P12ihipStream_tbEUlT_E1_NS1_11comp_targetILNS1_3genE3ELNS1_11target_archE908ELNS1_3gpuE7ELNS1_3repE0EEENS1_30default_config_static_selectorELNS0_4arch9wavefront6targetE1EEEvSP_
                                        ; -- End function
	.section	.AMDGPU.csdata,"",@progbits
; Kernel info:
; codeLenInByte = 0
; NumSgprs: 4
; NumVgprs: 0
; NumAgprs: 0
; TotalNumVgprs: 0
; ScratchSize: 0
; MemoryBound: 0
; FloatMode: 240
; IeeeMode: 1
; LDSByteSize: 0 bytes/workgroup (compile time only)
; SGPRBlocks: 0
; VGPRBlocks: 0
; NumSGPRsForWavesPerEU: 4
; NumVGPRsForWavesPerEU: 1
; AccumOffset: 4
; Occupancy: 8
; WaveLimiterHint : 0
; COMPUTE_PGM_RSRC2:SCRATCH_EN: 0
; COMPUTE_PGM_RSRC2:USER_SGPR: 6
; COMPUTE_PGM_RSRC2:TRAP_HANDLER: 0
; COMPUTE_PGM_RSRC2:TGID_X_EN: 1
; COMPUTE_PGM_RSRC2:TGID_Y_EN: 0
; COMPUTE_PGM_RSRC2:TGID_Z_EN: 0
; COMPUTE_PGM_RSRC2:TIDIG_COMP_CNT: 0
; COMPUTE_PGM_RSRC3_GFX90A:ACCUM_OFFSET: 0
; COMPUTE_PGM_RSRC3_GFX90A:TG_SPLIT: 0
	.section	.text._ZN7rocprim17ROCPRIM_400000_NS6detail17trampoline_kernelINS0_14default_configENS1_22reduce_config_selectorIfEEZNS1_11reduce_implILb1ES3_N6thrust23THRUST_200600_302600_NS11hip_rocprim35transform_pair_of_input_iterators_tIfNS8_6detail15normal_iteratorINS8_10device_ptrIfEEEESF_8abs_diffIfEEEPffNS8_7maximumIfEEEE10hipError_tPvRmT1_T2_T3_mT4_P12ihipStream_tbEUlT_E1_NS1_11comp_targetILNS1_3genE2ELNS1_11target_archE906ELNS1_3gpuE6ELNS1_3repE0EEENS1_30default_config_static_selectorELNS0_4arch9wavefront6targetE1EEEvSP_,"axG",@progbits,_ZN7rocprim17ROCPRIM_400000_NS6detail17trampoline_kernelINS0_14default_configENS1_22reduce_config_selectorIfEEZNS1_11reduce_implILb1ES3_N6thrust23THRUST_200600_302600_NS11hip_rocprim35transform_pair_of_input_iterators_tIfNS8_6detail15normal_iteratorINS8_10device_ptrIfEEEESF_8abs_diffIfEEEPffNS8_7maximumIfEEEE10hipError_tPvRmT1_T2_T3_mT4_P12ihipStream_tbEUlT_E1_NS1_11comp_targetILNS1_3genE2ELNS1_11target_archE906ELNS1_3gpuE6ELNS1_3repE0EEENS1_30default_config_static_selectorELNS0_4arch9wavefront6targetE1EEEvSP_,comdat
	.protected	_ZN7rocprim17ROCPRIM_400000_NS6detail17trampoline_kernelINS0_14default_configENS1_22reduce_config_selectorIfEEZNS1_11reduce_implILb1ES3_N6thrust23THRUST_200600_302600_NS11hip_rocprim35transform_pair_of_input_iterators_tIfNS8_6detail15normal_iteratorINS8_10device_ptrIfEEEESF_8abs_diffIfEEEPffNS8_7maximumIfEEEE10hipError_tPvRmT1_T2_T3_mT4_P12ihipStream_tbEUlT_E1_NS1_11comp_targetILNS1_3genE2ELNS1_11target_archE906ELNS1_3gpuE6ELNS1_3repE0EEENS1_30default_config_static_selectorELNS0_4arch9wavefront6targetE1EEEvSP_ ; -- Begin function _ZN7rocprim17ROCPRIM_400000_NS6detail17trampoline_kernelINS0_14default_configENS1_22reduce_config_selectorIfEEZNS1_11reduce_implILb1ES3_N6thrust23THRUST_200600_302600_NS11hip_rocprim35transform_pair_of_input_iterators_tIfNS8_6detail15normal_iteratorINS8_10device_ptrIfEEEESF_8abs_diffIfEEEPffNS8_7maximumIfEEEE10hipError_tPvRmT1_T2_T3_mT4_P12ihipStream_tbEUlT_E1_NS1_11comp_targetILNS1_3genE2ELNS1_11target_archE906ELNS1_3gpuE6ELNS1_3repE0EEENS1_30default_config_static_selectorELNS0_4arch9wavefront6targetE1EEEvSP_
	.globl	_ZN7rocprim17ROCPRIM_400000_NS6detail17trampoline_kernelINS0_14default_configENS1_22reduce_config_selectorIfEEZNS1_11reduce_implILb1ES3_N6thrust23THRUST_200600_302600_NS11hip_rocprim35transform_pair_of_input_iterators_tIfNS8_6detail15normal_iteratorINS8_10device_ptrIfEEEESF_8abs_diffIfEEEPffNS8_7maximumIfEEEE10hipError_tPvRmT1_T2_T3_mT4_P12ihipStream_tbEUlT_E1_NS1_11comp_targetILNS1_3genE2ELNS1_11target_archE906ELNS1_3gpuE6ELNS1_3repE0EEENS1_30default_config_static_selectorELNS0_4arch9wavefront6targetE1EEEvSP_
	.p2align	8
	.type	_ZN7rocprim17ROCPRIM_400000_NS6detail17trampoline_kernelINS0_14default_configENS1_22reduce_config_selectorIfEEZNS1_11reduce_implILb1ES3_N6thrust23THRUST_200600_302600_NS11hip_rocprim35transform_pair_of_input_iterators_tIfNS8_6detail15normal_iteratorINS8_10device_ptrIfEEEESF_8abs_diffIfEEEPffNS8_7maximumIfEEEE10hipError_tPvRmT1_T2_T3_mT4_P12ihipStream_tbEUlT_E1_NS1_11comp_targetILNS1_3genE2ELNS1_11target_archE906ELNS1_3gpuE6ELNS1_3repE0EEENS1_30default_config_static_selectorELNS0_4arch9wavefront6targetE1EEEvSP_,@function
_ZN7rocprim17ROCPRIM_400000_NS6detail17trampoline_kernelINS0_14default_configENS1_22reduce_config_selectorIfEEZNS1_11reduce_implILb1ES3_N6thrust23THRUST_200600_302600_NS11hip_rocprim35transform_pair_of_input_iterators_tIfNS8_6detail15normal_iteratorINS8_10device_ptrIfEEEESF_8abs_diffIfEEEPffNS8_7maximumIfEEEE10hipError_tPvRmT1_T2_T3_mT4_P12ihipStream_tbEUlT_E1_NS1_11comp_targetILNS1_3genE2ELNS1_11target_archE906ELNS1_3gpuE6ELNS1_3repE0EEENS1_30default_config_static_selectorELNS0_4arch9wavefront6targetE1EEEvSP_: ; @_ZN7rocprim17ROCPRIM_400000_NS6detail17trampoline_kernelINS0_14default_configENS1_22reduce_config_selectorIfEEZNS1_11reduce_implILb1ES3_N6thrust23THRUST_200600_302600_NS11hip_rocprim35transform_pair_of_input_iterators_tIfNS8_6detail15normal_iteratorINS8_10device_ptrIfEEEESF_8abs_diffIfEEEPffNS8_7maximumIfEEEE10hipError_tPvRmT1_T2_T3_mT4_P12ihipStream_tbEUlT_E1_NS1_11comp_targetILNS1_3genE2ELNS1_11target_archE906ELNS1_3gpuE6ELNS1_3repE0EEENS1_30default_config_static_selectorELNS0_4arch9wavefront6targetE1EEEvSP_
; %bb.0:
	.section	.rodata,"a",@progbits
	.p2align	6, 0x0
	.amdhsa_kernel _ZN7rocprim17ROCPRIM_400000_NS6detail17trampoline_kernelINS0_14default_configENS1_22reduce_config_selectorIfEEZNS1_11reduce_implILb1ES3_N6thrust23THRUST_200600_302600_NS11hip_rocprim35transform_pair_of_input_iterators_tIfNS8_6detail15normal_iteratorINS8_10device_ptrIfEEEESF_8abs_diffIfEEEPffNS8_7maximumIfEEEE10hipError_tPvRmT1_T2_T3_mT4_P12ihipStream_tbEUlT_E1_NS1_11comp_targetILNS1_3genE2ELNS1_11target_archE906ELNS1_3gpuE6ELNS1_3repE0EEENS1_30default_config_static_selectorELNS0_4arch9wavefront6targetE1EEEvSP_
		.amdhsa_group_segment_fixed_size 0
		.amdhsa_private_segment_fixed_size 0
		.amdhsa_kernarg_size 56
		.amdhsa_user_sgpr_count 6
		.amdhsa_user_sgpr_private_segment_buffer 1
		.amdhsa_user_sgpr_dispatch_ptr 0
		.amdhsa_user_sgpr_queue_ptr 0
		.amdhsa_user_sgpr_kernarg_segment_ptr 1
		.amdhsa_user_sgpr_dispatch_id 0
		.amdhsa_user_sgpr_flat_scratch_init 0
		.amdhsa_user_sgpr_kernarg_preload_length 0
		.amdhsa_user_sgpr_kernarg_preload_offset 0
		.amdhsa_user_sgpr_private_segment_size 0
		.amdhsa_uses_dynamic_stack 0
		.amdhsa_system_sgpr_private_segment_wavefront_offset 0
		.amdhsa_system_sgpr_workgroup_id_x 1
		.amdhsa_system_sgpr_workgroup_id_y 0
		.amdhsa_system_sgpr_workgroup_id_z 0
		.amdhsa_system_sgpr_workgroup_info 0
		.amdhsa_system_vgpr_workitem_id 0
		.amdhsa_next_free_vgpr 1
		.amdhsa_next_free_sgpr 0
		.amdhsa_accum_offset 4
		.amdhsa_reserve_vcc 0
		.amdhsa_reserve_flat_scratch 0
		.amdhsa_float_round_mode_32 0
		.amdhsa_float_round_mode_16_64 0
		.amdhsa_float_denorm_mode_32 3
		.amdhsa_float_denorm_mode_16_64 3
		.amdhsa_dx10_clamp 1
		.amdhsa_ieee_mode 1
		.amdhsa_fp16_overflow 0
		.amdhsa_tg_split 0
		.amdhsa_exception_fp_ieee_invalid_op 0
		.amdhsa_exception_fp_denorm_src 0
		.amdhsa_exception_fp_ieee_div_zero 0
		.amdhsa_exception_fp_ieee_overflow 0
		.amdhsa_exception_fp_ieee_underflow 0
		.amdhsa_exception_fp_ieee_inexact 0
		.amdhsa_exception_int_div_zero 0
	.end_amdhsa_kernel
	.section	.text._ZN7rocprim17ROCPRIM_400000_NS6detail17trampoline_kernelINS0_14default_configENS1_22reduce_config_selectorIfEEZNS1_11reduce_implILb1ES3_N6thrust23THRUST_200600_302600_NS11hip_rocprim35transform_pair_of_input_iterators_tIfNS8_6detail15normal_iteratorINS8_10device_ptrIfEEEESF_8abs_diffIfEEEPffNS8_7maximumIfEEEE10hipError_tPvRmT1_T2_T3_mT4_P12ihipStream_tbEUlT_E1_NS1_11comp_targetILNS1_3genE2ELNS1_11target_archE906ELNS1_3gpuE6ELNS1_3repE0EEENS1_30default_config_static_selectorELNS0_4arch9wavefront6targetE1EEEvSP_,"axG",@progbits,_ZN7rocprim17ROCPRIM_400000_NS6detail17trampoline_kernelINS0_14default_configENS1_22reduce_config_selectorIfEEZNS1_11reduce_implILb1ES3_N6thrust23THRUST_200600_302600_NS11hip_rocprim35transform_pair_of_input_iterators_tIfNS8_6detail15normal_iteratorINS8_10device_ptrIfEEEESF_8abs_diffIfEEEPffNS8_7maximumIfEEEE10hipError_tPvRmT1_T2_T3_mT4_P12ihipStream_tbEUlT_E1_NS1_11comp_targetILNS1_3genE2ELNS1_11target_archE906ELNS1_3gpuE6ELNS1_3repE0EEENS1_30default_config_static_selectorELNS0_4arch9wavefront6targetE1EEEvSP_,comdat
.Lfunc_end32:
	.size	_ZN7rocprim17ROCPRIM_400000_NS6detail17trampoline_kernelINS0_14default_configENS1_22reduce_config_selectorIfEEZNS1_11reduce_implILb1ES3_N6thrust23THRUST_200600_302600_NS11hip_rocprim35transform_pair_of_input_iterators_tIfNS8_6detail15normal_iteratorINS8_10device_ptrIfEEEESF_8abs_diffIfEEEPffNS8_7maximumIfEEEE10hipError_tPvRmT1_T2_T3_mT4_P12ihipStream_tbEUlT_E1_NS1_11comp_targetILNS1_3genE2ELNS1_11target_archE906ELNS1_3gpuE6ELNS1_3repE0EEENS1_30default_config_static_selectorELNS0_4arch9wavefront6targetE1EEEvSP_, .Lfunc_end32-_ZN7rocprim17ROCPRIM_400000_NS6detail17trampoline_kernelINS0_14default_configENS1_22reduce_config_selectorIfEEZNS1_11reduce_implILb1ES3_N6thrust23THRUST_200600_302600_NS11hip_rocprim35transform_pair_of_input_iterators_tIfNS8_6detail15normal_iteratorINS8_10device_ptrIfEEEESF_8abs_diffIfEEEPffNS8_7maximumIfEEEE10hipError_tPvRmT1_T2_T3_mT4_P12ihipStream_tbEUlT_E1_NS1_11comp_targetILNS1_3genE2ELNS1_11target_archE906ELNS1_3gpuE6ELNS1_3repE0EEENS1_30default_config_static_selectorELNS0_4arch9wavefront6targetE1EEEvSP_
                                        ; -- End function
	.section	.AMDGPU.csdata,"",@progbits
; Kernel info:
; codeLenInByte = 0
; NumSgprs: 4
; NumVgprs: 0
; NumAgprs: 0
; TotalNumVgprs: 0
; ScratchSize: 0
; MemoryBound: 0
; FloatMode: 240
; IeeeMode: 1
; LDSByteSize: 0 bytes/workgroup (compile time only)
; SGPRBlocks: 0
; VGPRBlocks: 0
; NumSGPRsForWavesPerEU: 4
; NumVGPRsForWavesPerEU: 1
; AccumOffset: 4
; Occupancy: 8
; WaveLimiterHint : 0
; COMPUTE_PGM_RSRC2:SCRATCH_EN: 0
; COMPUTE_PGM_RSRC2:USER_SGPR: 6
; COMPUTE_PGM_RSRC2:TRAP_HANDLER: 0
; COMPUTE_PGM_RSRC2:TGID_X_EN: 1
; COMPUTE_PGM_RSRC2:TGID_Y_EN: 0
; COMPUTE_PGM_RSRC2:TGID_Z_EN: 0
; COMPUTE_PGM_RSRC2:TIDIG_COMP_CNT: 0
; COMPUTE_PGM_RSRC3_GFX90A:ACCUM_OFFSET: 0
; COMPUTE_PGM_RSRC3_GFX90A:TG_SPLIT: 0
	.section	.text._ZN7rocprim17ROCPRIM_400000_NS6detail17trampoline_kernelINS0_14default_configENS1_22reduce_config_selectorIfEEZNS1_11reduce_implILb1ES3_N6thrust23THRUST_200600_302600_NS11hip_rocprim35transform_pair_of_input_iterators_tIfNS8_6detail15normal_iteratorINS8_10device_ptrIfEEEESF_8abs_diffIfEEEPffNS8_7maximumIfEEEE10hipError_tPvRmT1_T2_T3_mT4_P12ihipStream_tbEUlT_E1_NS1_11comp_targetILNS1_3genE10ELNS1_11target_archE1201ELNS1_3gpuE5ELNS1_3repE0EEENS1_30default_config_static_selectorELNS0_4arch9wavefront6targetE1EEEvSP_,"axG",@progbits,_ZN7rocprim17ROCPRIM_400000_NS6detail17trampoline_kernelINS0_14default_configENS1_22reduce_config_selectorIfEEZNS1_11reduce_implILb1ES3_N6thrust23THRUST_200600_302600_NS11hip_rocprim35transform_pair_of_input_iterators_tIfNS8_6detail15normal_iteratorINS8_10device_ptrIfEEEESF_8abs_diffIfEEEPffNS8_7maximumIfEEEE10hipError_tPvRmT1_T2_T3_mT4_P12ihipStream_tbEUlT_E1_NS1_11comp_targetILNS1_3genE10ELNS1_11target_archE1201ELNS1_3gpuE5ELNS1_3repE0EEENS1_30default_config_static_selectorELNS0_4arch9wavefront6targetE1EEEvSP_,comdat
	.protected	_ZN7rocprim17ROCPRIM_400000_NS6detail17trampoline_kernelINS0_14default_configENS1_22reduce_config_selectorIfEEZNS1_11reduce_implILb1ES3_N6thrust23THRUST_200600_302600_NS11hip_rocprim35transform_pair_of_input_iterators_tIfNS8_6detail15normal_iteratorINS8_10device_ptrIfEEEESF_8abs_diffIfEEEPffNS8_7maximumIfEEEE10hipError_tPvRmT1_T2_T3_mT4_P12ihipStream_tbEUlT_E1_NS1_11comp_targetILNS1_3genE10ELNS1_11target_archE1201ELNS1_3gpuE5ELNS1_3repE0EEENS1_30default_config_static_selectorELNS0_4arch9wavefront6targetE1EEEvSP_ ; -- Begin function _ZN7rocprim17ROCPRIM_400000_NS6detail17trampoline_kernelINS0_14default_configENS1_22reduce_config_selectorIfEEZNS1_11reduce_implILb1ES3_N6thrust23THRUST_200600_302600_NS11hip_rocprim35transform_pair_of_input_iterators_tIfNS8_6detail15normal_iteratorINS8_10device_ptrIfEEEESF_8abs_diffIfEEEPffNS8_7maximumIfEEEE10hipError_tPvRmT1_T2_T3_mT4_P12ihipStream_tbEUlT_E1_NS1_11comp_targetILNS1_3genE10ELNS1_11target_archE1201ELNS1_3gpuE5ELNS1_3repE0EEENS1_30default_config_static_selectorELNS0_4arch9wavefront6targetE1EEEvSP_
	.globl	_ZN7rocprim17ROCPRIM_400000_NS6detail17trampoline_kernelINS0_14default_configENS1_22reduce_config_selectorIfEEZNS1_11reduce_implILb1ES3_N6thrust23THRUST_200600_302600_NS11hip_rocprim35transform_pair_of_input_iterators_tIfNS8_6detail15normal_iteratorINS8_10device_ptrIfEEEESF_8abs_diffIfEEEPffNS8_7maximumIfEEEE10hipError_tPvRmT1_T2_T3_mT4_P12ihipStream_tbEUlT_E1_NS1_11comp_targetILNS1_3genE10ELNS1_11target_archE1201ELNS1_3gpuE5ELNS1_3repE0EEENS1_30default_config_static_selectorELNS0_4arch9wavefront6targetE1EEEvSP_
	.p2align	8
	.type	_ZN7rocprim17ROCPRIM_400000_NS6detail17trampoline_kernelINS0_14default_configENS1_22reduce_config_selectorIfEEZNS1_11reduce_implILb1ES3_N6thrust23THRUST_200600_302600_NS11hip_rocprim35transform_pair_of_input_iterators_tIfNS8_6detail15normal_iteratorINS8_10device_ptrIfEEEESF_8abs_diffIfEEEPffNS8_7maximumIfEEEE10hipError_tPvRmT1_T2_T3_mT4_P12ihipStream_tbEUlT_E1_NS1_11comp_targetILNS1_3genE10ELNS1_11target_archE1201ELNS1_3gpuE5ELNS1_3repE0EEENS1_30default_config_static_selectorELNS0_4arch9wavefront6targetE1EEEvSP_,@function
_ZN7rocprim17ROCPRIM_400000_NS6detail17trampoline_kernelINS0_14default_configENS1_22reduce_config_selectorIfEEZNS1_11reduce_implILb1ES3_N6thrust23THRUST_200600_302600_NS11hip_rocprim35transform_pair_of_input_iterators_tIfNS8_6detail15normal_iteratorINS8_10device_ptrIfEEEESF_8abs_diffIfEEEPffNS8_7maximumIfEEEE10hipError_tPvRmT1_T2_T3_mT4_P12ihipStream_tbEUlT_E1_NS1_11comp_targetILNS1_3genE10ELNS1_11target_archE1201ELNS1_3gpuE5ELNS1_3repE0EEENS1_30default_config_static_selectorELNS0_4arch9wavefront6targetE1EEEvSP_: ; @_ZN7rocprim17ROCPRIM_400000_NS6detail17trampoline_kernelINS0_14default_configENS1_22reduce_config_selectorIfEEZNS1_11reduce_implILb1ES3_N6thrust23THRUST_200600_302600_NS11hip_rocprim35transform_pair_of_input_iterators_tIfNS8_6detail15normal_iteratorINS8_10device_ptrIfEEEESF_8abs_diffIfEEEPffNS8_7maximumIfEEEE10hipError_tPvRmT1_T2_T3_mT4_P12ihipStream_tbEUlT_E1_NS1_11comp_targetILNS1_3genE10ELNS1_11target_archE1201ELNS1_3gpuE5ELNS1_3repE0EEENS1_30default_config_static_selectorELNS0_4arch9wavefront6targetE1EEEvSP_
; %bb.0:
	.section	.rodata,"a",@progbits
	.p2align	6, 0x0
	.amdhsa_kernel _ZN7rocprim17ROCPRIM_400000_NS6detail17trampoline_kernelINS0_14default_configENS1_22reduce_config_selectorIfEEZNS1_11reduce_implILb1ES3_N6thrust23THRUST_200600_302600_NS11hip_rocprim35transform_pair_of_input_iterators_tIfNS8_6detail15normal_iteratorINS8_10device_ptrIfEEEESF_8abs_diffIfEEEPffNS8_7maximumIfEEEE10hipError_tPvRmT1_T2_T3_mT4_P12ihipStream_tbEUlT_E1_NS1_11comp_targetILNS1_3genE10ELNS1_11target_archE1201ELNS1_3gpuE5ELNS1_3repE0EEENS1_30default_config_static_selectorELNS0_4arch9wavefront6targetE1EEEvSP_
		.amdhsa_group_segment_fixed_size 0
		.amdhsa_private_segment_fixed_size 0
		.amdhsa_kernarg_size 56
		.amdhsa_user_sgpr_count 6
		.amdhsa_user_sgpr_private_segment_buffer 1
		.amdhsa_user_sgpr_dispatch_ptr 0
		.amdhsa_user_sgpr_queue_ptr 0
		.amdhsa_user_sgpr_kernarg_segment_ptr 1
		.amdhsa_user_sgpr_dispatch_id 0
		.amdhsa_user_sgpr_flat_scratch_init 0
		.amdhsa_user_sgpr_kernarg_preload_length 0
		.amdhsa_user_sgpr_kernarg_preload_offset 0
		.amdhsa_user_sgpr_private_segment_size 0
		.amdhsa_uses_dynamic_stack 0
		.amdhsa_system_sgpr_private_segment_wavefront_offset 0
		.amdhsa_system_sgpr_workgroup_id_x 1
		.amdhsa_system_sgpr_workgroup_id_y 0
		.amdhsa_system_sgpr_workgroup_id_z 0
		.amdhsa_system_sgpr_workgroup_info 0
		.amdhsa_system_vgpr_workitem_id 0
		.amdhsa_next_free_vgpr 1
		.amdhsa_next_free_sgpr 0
		.amdhsa_accum_offset 4
		.amdhsa_reserve_vcc 0
		.amdhsa_reserve_flat_scratch 0
		.amdhsa_float_round_mode_32 0
		.amdhsa_float_round_mode_16_64 0
		.amdhsa_float_denorm_mode_32 3
		.amdhsa_float_denorm_mode_16_64 3
		.amdhsa_dx10_clamp 1
		.amdhsa_ieee_mode 1
		.amdhsa_fp16_overflow 0
		.amdhsa_tg_split 0
		.amdhsa_exception_fp_ieee_invalid_op 0
		.amdhsa_exception_fp_denorm_src 0
		.amdhsa_exception_fp_ieee_div_zero 0
		.amdhsa_exception_fp_ieee_overflow 0
		.amdhsa_exception_fp_ieee_underflow 0
		.amdhsa_exception_fp_ieee_inexact 0
		.amdhsa_exception_int_div_zero 0
	.end_amdhsa_kernel
	.section	.text._ZN7rocprim17ROCPRIM_400000_NS6detail17trampoline_kernelINS0_14default_configENS1_22reduce_config_selectorIfEEZNS1_11reduce_implILb1ES3_N6thrust23THRUST_200600_302600_NS11hip_rocprim35transform_pair_of_input_iterators_tIfNS8_6detail15normal_iteratorINS8_10device_ptrIfEEEESF_8abs_diffIfEEEPffNS8_7maximumIfEEEE10hipError_tPvRmT1_T2_T3_mT4_P12ihipStream_tbEUlT_E1_NS1_11comp_targetILNS1_3genE10ELNS1_11target_archE1201ELNS1_3gpuE5ELNS1_3repE0EEENS1_30default_config_static_selectorELNS0_4arch9wavefront6targetE1EEEvSP_,"axG",@progbits,_ZN7rocprim17ROCPRIM_400000_NS6detail17trampoline_kernelINS0_14default_configENS1_22reduce_config_selectorIfEEZNS1_11reduce_implILb1ES3_N6thrust23THRUST_200600_302600_NS11hip_rocprim35transform_pair_of_input_iterators_tIfNS8_6detail15normal_iteratorINS8_10device_ptrIfEEEESF_8abs_diffIfEEEPffNS8_7maximumIfEEEE10hipError_tPvRmT1_T2_T3_mT4_P12ihipStream_tbEUlT_E1_NS1_11comp_targetILNS1_3genE10ELNS1_11target_archE1201ELNS1_3gpuE5ELNS1_3repE0EEENS1_30default_config_static_selectorELNS0_4arch9wavefront6targetE1EEEvSP_,comdat
.Lfunc_end33:
	.size	_ZN7rocprim17ROCPRIM_400000_NS6detail17trampoline_kernelINS0_14default_configENS1_22reduce_config_selectorIfEEZNS1_11reduce_implILb1ES3_N6thrust23THRUST_200600_302600_NS11hip_rocprim35transform_pair_of_input_iterators_tIfNS8_6detail15normal_iteratorINS8_10device_ptrIfEEEESF_8abs_diffIfEEEPffNS8_7maximumIfEEEE10hipError_tPvRmT1_T2_T3_mT4_P12ihipStream_tbEUlT_E1_NS1_11comp_targetILNS1_3genE10ELNS1_11target_archE1201ELNS1_3gpuE5ELNS1_3repE0EEENS1_30default_config_static_selectorELNS0_4arch9wavefront6targetE1EEEvSP_, .Lfunc_end33-_ZN7rocprim17ROCPRIM_400000_NS6detail17trampoline_kernelINS0_14default_configENS1_22reduce_config_selectorIfEEZNS1_11reduce_implILb1ES3_N6thrust23THRUST_200600_302600_NS11hip_rocprim35transform_pair_of_input_iterators_tIfNS8_6detail15normal_iteratorINS8_10device_ptrIfEEEESF_8abs_diffIfEEEPffNS8_7maximumIfEEEE10hipError_tPvRmT1_T2_T3_mT4_P12ihipStream_tbEUlT_E1_NS1_11comp_targetILNS1_3genE10ELNS1_11target_archE1201ELNS1_3gpuE5ELNS1_3repE0EEENS1_30default_config_static_selectorELNS0_4arch9wavefront6targetE1EEEvSP_
                                        ; -- End function
	.section	.AMDGPU.csdata,"",@progbits
; Kernel info:
; codeLenInByte = 0
; NumSgprs: 4
; NumVgprs: 0
; NumAgprs: 0
; TotalNumVgprs: 0
; ScratchSize: 0
; MemoryBound: 0
; FloatMode: 240
; IeeeMode: 1
; LDSByteSize: 0 bytes/workgroup (compile time only)
; SGPRBlocks: 0
; VGPRBlocks: 0
; NumSGPRsForWavesPerEU: 4
; NumVGPRsForWavesPerEU: 1
; AccumOffset: 4
; Occupancy: 8
; WaveLimiterHint : 0
; COMPUTE_PGM_RSRC2:SCRATCH_EN: 0
; COMPUTE_PGM_RSRC2:USER_SGPR: 6
; COMPUTE_PGM_RSRC2:TRAP_HANDLER: 0
; COMPUTE_PGM_RSRC2:TGID_X_EN: 1
; COMPUTE_PGM_RSRC2:TGID_Y_EN: 0
; COMPUTE_PGM_RSRC2:TGID_Z_EN: 0
; COMPUTE_PGM_RSRC2:TIDIG_COMP_CNT: 0
; COMPUTE_PGM_RSRC3_GFX90A:ACCUM_OFFSET: 0
; COMPUTE_PGM_RSRC3_GFX90A:TG_SPLIT: 0
	.section	.text._ZN7rocprim17ROCPRIM_400000_NS6detail17trampoline_kernelINS0_14default_configENS1_22reduce_config_selectorIfEEZNS1_11reduce_implILb1ES3_N6thrust23THRUST_200600_302600_NS11hip_rocprim35transform_pair_of_input_iterators_tIfNS8_6detail15normal_iteratorINS8_10device_ptrIfEEEESF_8abs_diffIfEEEPffNS8_7maximumIfEEEE10hipError_tPvRmT1_T2_T3_mT4_P12ihipStream_tbEUlT_E1_NS1_11comp_targetILNS1_3genE10ELNS1_11target_archE1200ELNS1_3gpuE4ELNS1_3repE0EEENS1_30default_config_static_selectorELNS0_4arch9wavefront6targetE1EEEvSP_,"axG",@progbits,_ZN7rocprim17ROCPRIM_400000_NS6detail17trampoline_kernelINS0_14default_configENS1_22reduce_config_selectorIfEEZNS1_11reduce_implILb1ES3_N6thrust23THRUST_200600_302600_NS11hip_rocprim35transform_pair_of_input_iterators_tIfNS8_6detail15normal_iteratorINS8_10device_ptrIfEEEESF_8abs_diffIfEEEPffNS8_7maximumIfEEEE10hipError_tPvRmT1_T2_T3_mT4_P12ihipStream_tbEUlT_E1_NS1_11comp_targetILNS1_3genE10ELNS1_11target_archE1200ELNS1_3gpuE4ELNS1_3repE0EEENS1_30default_config_static_selectorELNS0_4arch9wavefront6targetE1EEEvSP_,comdat
	.protected	_ZN7rocprim17ROCPRIM_400000_NS6detail17trampoline_kernelINS0_14default_configENS1_22reduce_config_selectorIfEEZNS1_11reduce_implILb1ES3_N6thrust23THRUST_200600_302600_NS11hip_rocprim35transform_pair_of_input_iterators_tIfNS8_6detail15normal_iteratorINS8_10device_ptrIfEEEESF_8abs_diffIfEEEPffNS8_7maximumIfEEEE10hipError_tPvRmT1_T2_T3_mT4_P12ihipStream_tbEUlT_E1_NS1_11comp_targetILNS1_3genE10ELNS1_11target_archE1200ELNS1_3gpuE4ELNS1_3repE0EEENS1_30default_config_static_selectorELNS0_4arch9wavefront6targetE1EEEvSP_ ; -- Begin function _ZN7rocprim17ROCPRIM_400000_NS6detail17trampoline_kernelINS0_14default_configENS1_22reduce_config_selectorIfEEZNS1_11reduce_implILb1ES3_N6thrust23THRUST_200600_302600_NS11hip_rocprim35transform_pair_of_input_iterators_tIfNS8_6detail15normal_iteratorINS8_10device_ptrIfEEEESF_8abs_diffIfEEEPffNS8_7maximumIfEEEE10hipError_tPvRmT1_T2_T3_mT4_P12ihipStream_tbEUlT_E1_NS1_11comp_targetILNS1_3genE10ELNS1_11target_archE1200ELNS1_3gpuE4ELNS1_3repE0EEENS1_30default_config_static_selectorELNS0_4arch9wavefront6targetE1EEEvSP_
	.globl	_ZN7rocprim17ROCPRIM_400000_NS6detail17trampoline_kernelINS0_14default_configENS1_22reduce_config_selectorIfEEZNS1_11reduce_implILb1ES3_N6thrust23THRUST_200600_302600_NS11hip_rocprim35transform_pair_of_input_iterators_tIfNS8_6detail15normal_iteratorINS8_10device_ptrIfEEEESF_8abs_diffIfEEEPffNS8_7maximumIfEEEE10hipError_tPvRmT1_T2_T3_mT4_P12ihipStream_tbEUlT_E1_NS1_11comp_targetILNS1_3genE10ELNS1_11target_archE1200ELNS1_3gpuE4ELNS1_3repE0EEENS1_30default_config_static_selectorELNS0_4arch9wavefront6targetE1EEEvSP_
	.p2align	8
	.type	_ZN7rocprim17ROCPRIM_400000_NS6detail17trampoline_kernelINS0_14default_configENS1_22reduce_config_selectorIfEEZNS1_11reduce_implILb1ES3_N6thrust23THRUST_200600_302600_NS11hip_rocprim35transform_pair_of_input_iterators_tIfNS8_6detail15normal_iteratorINS8_10device_ptrIfEEEESF_8abs_diffIfEEEPffNS8_7maximumIfEEEE10hipError_tPvRmT1_T2_T3_mT4_P12ihipStream_tbEUlT_E1_NS1_11comp_targetILNS1_3genE10ELNS1_11target_archE1200ELNS1_3gpuE4ELNS1_3repE0EEENS1_30default_config_static_selectorELNS0_4arch9wavefront6targetE1EEEvSP_,@function
_ZN7rocprim17ROCPRIM_400000_NS6detail17trampoline_kernelINS0_14default_configENS1_22reduce_config_selectorIfEEZNS1_11reduce_implILb1ES3_N6thrust23THRUST_200600_302600_NS11hip_rocprim35transform_pair_of_input_iterators_tIfNS8_6detail15normal_iteratorINS8_10device_ptrIfEEEESF_8abs_diffIfEEEPffNS8_7maximumIfEEEE10hipError_tPvRmT1_T2_T3_mT4_P12ihipStream_tbEUlT_E1_NS1_11comp_targetILNS1_3genE10ELNS1_11target_archE1200ELNS1_3gpuE4ELNS1_3repE0EEENS1_30default_config_static_selectorELNS0_4arch9wavefront6targetE1EEEvSP_: ; @_ZN7rocprim17ROCPRIM_400000_NS6detail17trampoline_kernelINS0_14default_configENS1_22reduce_config_selectorIfEEZNS1_11reduce_implILb1ES3_N6thrust23THRUST_200600_302600_NS11hip_rocprim35transform_pair_of_input_iterators_tIfNS8_6detail15normal_iteratorINS8_10device_ptrIfEEEESF_8abs_diffIfEEEPffNS8_7maximumIfEEEE10hipError_tPvRmT1_T2_T3_mT4_P12ihipStream_tbEUlT_E1_NS1_11comp_targetILNS1_3genE10ELNS1_11target_archE1200ELNS1_3gpuE4ELNS1_3repE0EEENS1_30default_config_static_selectorELNS0_4arch9wavefront6targetE1EEEvSP_
; %bb.0:
	.section	.rodata,"a",@progbits
	.p2align	6, 0x0
	.amdhsa_kernel _ZN7rocprim17ROCPRIM_400000_NS6detail17trampoline_kernelINS0_14default_configENS1_22reduce_config_selectorIfEEZNS1_11reduce_implILb1ES3_N6thrust23THRUST_200600_302600_NS11hip_rocprim35transform_pair_of_input_iterators_tIfNS8_6detail15normal_iteratorINS8_10device_ptrIfEEEESF_8abs_diffIfEEEPffNS8_7maximumIfEEEE10hipError_tPvRmT1_T2_T3_mT4_P12ihipStream_tbEUlT_E1_NS1_11comp_targetILNS1_3genE10ELNS1_11target_archE1200ELNS1_3gpuE4ELNS1_3repE0EEENS1_30default_config_static_selectorELNS0_4arch9wavefront6targetE1EEEvSP_
		.amdhsa_group_segment_fixed_size 0
		.amdhsa_private_segment_fixed_size 0
		.amdhsa_kernarg_size 56
		.amdhsa_user_sgpr_count 6
		.amdhsa_user_sgpr_private_segment_buffer 1
		.amdhsa_user_sgpr_dispatch_ptr 0
		.amdhsa_user_sgpr_queue_ptr 0
		.amdhsa_user_sgpr_kernarg_segment_ptr 1
		.amdhsa_user_sgpr_dispatch_id 0
		.amdhsa_user_sgpr_flat_scratch_init 0
		.amdhsa_user_sgpr_kernarg_preload_length 0
		.amdhsa_user_sgpr_kernarg_preload_offset 0
		.amdhsa_user_sgpr_private_segment_size 0
		.amdhsa_uses_dynamic_stack 0
		.amdhsa_system_sgpr_private_segment_wavefront_offset 0
		.amdhsa_system_sgpr_workgroup_id_x 1
		.amdhsa_system_sgpr_workgroup_id_y 0
		.amdhsa_system_sgpr_workgroup_id_z 0
		.amdhsa_system_sgpr_workgroup_info 0
		.amdhsa_system_vgpr_workitem_id 0
		.amdhsa_next_free_vgpr 1
		.amdhsa_next_free_sgpr 0
		.amdhsa_accum_offset 4
		.amdhsa_reserve_vcc 0
		.amdhsa_reserve_flat_scratch 0
		.amdhsa_float_round_mode_32 0
		.amdhsa_float_round_mode_16_64 0
		.amdhsa_float_denorm_mode_32 3
		.amdhsa_float_denorm_mode_16_64 3
		.amdhsa_dx10_clamp 1
		.amdhsa_ieee_mode 1
		.amdhsa_fp16_overflow 0
		.amdhsa_tg_split 0
		.amdhsa_exception_fp_ieee_invalid_op 0
		.amdhsa_exception_fp_denorm_src 0
		.amdhsa_exception_fp_ieee_div_zero 0
		.amdhsa_exception_fp_ieee_overflow 0
		.amdhsa_exception_fp_ieee_underflow 0
		.amdhsa_exception_fp_ieee_inexact 0
		.amdhsa_exception_int_div_zero 0
	.end_amdhsa_kernel
	.section	.text._ZN7rocprim17ROCPRIM_400000_NS6detail17trampoline_kernelINS0_14default_configENS1_22reduce_config_selectorIfEEZNS1_11reduce_implILb1ES3_N6thrust23THRUST_200600_302600_NS11hip_rocprim35transform_pair_of_input_iterators_tIfNS8_6detail15normal_iteratorINS8_10device_ptrIfEEEESF_8abs_diffIfEEEPffNS8_7maximumIfEEEE10hipError_tPvRmT1_T2_T3_mT4_P12ihipStream_tbEUlT_E1_NS1_11comp_targetILNS1_3genE10ELNS1_11target_archE1200ELNS1_3gpuE4ELNS1_3repE0EEENS1_30default_config_static_selectorELNS0_4arch9wavefront6targetE1EEEvSP_,"axG",@progbits,_ZN7rocprim17ROCPRIM_400000_NS6detail17trampoline_kernelINS0_14default_configENS1_22reduce_config_selectorIfEEZNS1_11reduce_implILb1ES3_N6thrust23THRUST_200600_302600_NS11hip_rocprim35transform_pair_of_input_iterators_tIfNS8_6detail15normal_iteratorINS8_10device_ptrIfEEEESF_8abs_diffIfEEEPffNS8_7maximumIfEEEE10hipError_tPvRmT1_T2_T3_mT4_P12ihipStream_tbEUlT_E1_NS1_11comp_targetILNS1_3genE10ELNS1_11target_archE1200ELNS1_3gpuE4ELNS1_3repE0EEENS1_30default_config_static_selectorELNS0_4arch9wavefront6targetE1EEEvSP_,comdat
.Lfunc_end34:
	.size	_ZN7rocprim17ROCPRIM_400000_NS6detail17trampoline_kernelINS0_14default_configENS1_22reduce_config_selectorIfEEZNS1_11reduce_implILb1ES3_N6thrust23THRUST_200600_302600_NS11hip_rocprim35transform_pair_of_input_iterators_tIfNS8_6detail15normal_iteratorINS8_10device_ptrIfEEEESF_8abs_diffIfEEEPffNS8_7maximumIfEEEE10hipError_tPvRmT1_T2_T3_mT4_P12ihipStream_tbEUlT_E1_NS1_11comp_targetILNS1_3genE10ELNS1_11target_archE1200ELNS1_3gpuE4ELNS1_3repE0EEENS1_30default_config_static_selectorELNS0_4arch9wavefront6targetE1EEEvSP_, .Lfunc_end34-_ZN7rocprim17ROCPRIM_400000_NS6detail17trampoline_kernelINS0_14default_configENS1_22reduce_config_selectorIfEEZNS1_11reduce_implILb1ES3_N6thrust23THRUST_200600_302600_NS11hip_rocprim35transform_pair_of_input_iterators_tIfNS8_6detail15normal_iteratorINS8_10device_ptrIfEEEESF_8abs_diffIfEEEPffNS8_7maximumIfEEEE10hipError_tPvRmT1_T2_T3_mT4_P12ihipStream_tbEUlT_E1_NS1_11comp_targetILNS1_3genE10ELNS1_11target_archE1200ELNS1_3gpuE4ELNS1_3repE0EEENS1_30default_config_static_selectorELNS0_4arch9wavefront6targetE1EEEvSP_
                                        ; -- End function
	.section	.AMDGPU.csdata,"",@progbits
; Kernel info:
; codeLenInByte = 0
; NumSgprs: 4
; NumVgprs: 0
; NumAgprs: 0
; TotalNumVgprs: 0
; ScratchSize: 0
; MemoryBound: 0
; FloatMode: 240
; IeeeMode: 1
; LDSByteSize: 0 bytes/workgroup (compile time only)
; SGPRBlocks: 0
; VGPRBlocks: 0
; NumSGPRsForWavesPerEU: 4
; NumVGPRsForWavesPerEU: 1
; AccumOffset: 4
; Occupancy: 8
; WaveLimiterHint : 0
; COMPUTE_PGM_RSRC2:SCRATCH_EN: 0
; COMPUTE_PGM_RSRC2:USER_SGPR: 6
; COMPUTE_PGM_RSRC2:TRAP_HANDLER: 0
; COMPUTE_PGM_RSRC2:TGID_X_EN: 1
; COMPUTE_PGM_RSRC2:TGID_Y_EN: 0
; COMPUTE_PGM_RSRC2:TGID_Z_EN: 0
; COMPUTE_PGM_RSRC2:TIDIG_COMP_CNT: 0
; COMPUTE_PGM_RSRC3_GFX90A:ACCUM_OFFSET: 0
; COMPUTE_PGM_RSRC3_GFX90A:TG_SPLIT: 0
	.section	.text._ZN7rocprim17ROCPRIM_400000_NS6detail17trampoline_kernelINS0_14default_configENS1_22reduce_config_selectorIfEEZNS1_11reduce_implILb1ES3_N6thrust23THRUST_200600_302600_NS11hip_rocprim35transform_pair_of_input_iterators_tIfNS8_6detail15normal_iteratorINS8_10device_ptrIfEEEESF_8abs_diffIfEEEPffNS8_7maximumIfEEEE10hipError_tPvRmT1_T2_T3_mT4_P12ihipStream_tbEUlT_E1_NS1_11comp_targetILNS1_3genE9ELNS1_11target_archE1100ELNS1_3gpuE3ELNS1_3repE0EEENS1_30default_config_static_selectorELNS0_4arch9wavefront6targetE1EEEvSP_,"axG",@progbits,_ZN7rocprim17ROCPRIM_400000_NS6detail17trampoline_kernelINS0_14default_configENS1_22reduce_config_selectorIfEEZNS1_11reduce_implILb1ES3_N6thrust23THRUST_200600_302600_NS11hip_rocprim35transform_pair_of_input_iterators_tIfNS8_6detail15normal_iteratorINS8_10device_ptrIfEEEESF_8abs_diffIfEEEPffNS8_7maximumIfEEEE10hipError_tPvRmT1_T2_T3_mT4_P12ihipStream_tbEUlT_E1_NS1_11comp_targetILNS1_3genE9ELNS1_11target_archE1100ELNS1_3gpuE3ELNS1_3repE0EEENS1_30default_config_static_selectorELNS0_4arch9wavefront6targetE1EEEvSP_,comdat
	.protected	_ZN7rocprim17ROCPRIM_400000_NS6detail17trampoline_kernelINS0_14default_configENS1_22reduce_config_selectorIfEEZNS1_11reduce_implILb1ES3_N6thrust23THRUST_200600_302600_NS11hip_rocprim35transform_pair_of_input_iterators_tIfNS8_6detail15normal_iteratorINS8_10device_ptrIfEEEESF_8abs_diffIfEEEPffNS8_7maximumIfEEEE10hipError_tPvRmT1_T2_T3_mT4_P12ihipStream_tbEUlT_E1_NS1_11comp_targetILNS1_3genE9ELNS1_11target_archE1100ELNS1_3gpuE3ELNS1_3repE0EEENS1_30default_config_static_selectorELNS0_4arch9wavefront6targetE1EEEvSP_ ; -- Begin function _ZN7rocprim17ROCPRIM_400000_NS6detail17trampoline_kernelINS0_14default_configENS1_22reduce_config_selectorIfEEZNS1_11reduce_implILb1ES3_N6thrust23THRUST_200600_302600_NS11hip_rocprim35transform_pair_of_input_iterators_tIfNS8_6detail15normal_iteratorINS8_10device_ptrIfEEEESF_8abs_diffIfEEEPffNS8_7maximumIfEEEE10hipError_tPvRmT1_T2_T3_mT4_P12ihipStream_tbEUlT_E1_NS1_11comp_targetILNS1_3genE9ELNS1_11target_archE1100ELNS1_3gpuE3ELNS1_3repE0EEENS1_30default_config_static_selectorELNS0_4arch9wavefront6targetE1EEEvSP_
	.globl	_ZN7rocprim17ROCPRIM_400000_NS6detail17trampoline_kernelINS0_14default_configENS1_22reduce_config_selectorIfEEZNS1_11reduce_implILb1ES3_N6thrust23THRUST_200600_302600_NS11hip_rocprim35transform_pair_of_input_iterators_tIfNS8_6detail15normal_iteratorINS8_10device_ptrIfEEEESF_8abs_diffIfEEEPffNS8_7maximumIfEEEE10hipError_tPvRmT1_T2_T3_mT4_P12ihipStream_tbEUlT_E1_NS1_11comp_targetILNS1_3genE9ELNS1_11target_archE1100ELNS1_3gpuE3ELNS1_3repE0EEENS1_30default_config_static_selectorELNS0_4arch9wavefront6targetE1EEEvSP_
	.p2align	8
	.type	_ZN7rocprim17ROCPRIM_400000_NS6detail17trampoline_kernelINS0_14default_configENS1_22reduce_config_selectorIfEEZNS1_11reduce_implILb1ES3_N6thrust23THRUST_200600_302600_NS11hip_rocprim35transform_pair_of_input_iterators_tIfNS8_6detail15normal_iteratorINS8_10device_ptrIfEEEESF_8abs_diffIfEEEPffNS8_7maximumIfEEEE10hipError_tPvRmT1_T2_T3_mT4_P12ihipStream_tbEUlT_E1_NS1_11comp_targetILNS1_3genE9ELNS1_11target_archE1100ELNS1_3gpuE3ELNS1_3repE0EEENS1_30default_config_static_selectorELNS0_4arch9wavefront6targetE1EEEvSP_,@function
_ZN7rocprim17ROCPRIM_400000_NS6detail17trampoline_kernelINS0_14default_configENS1_22reduce_config_selectorIfEEZNS1_11reduce_implILb1ES3_N6thrust23THRUST_200600_302600_NS11hip_rocprim35transform_pair_of_input_iterators_tIfNS8_6detail15normal_iteratorINS8_10device_ptrIfEEEESF_8abs_diffIfEEEPffNS8_7maximumIfEEEE10hipError_tPvRmT1_T2_T3_mT4_P12ihipStream_tbEUlT_E1_NS1_11comp_targetILNS1_3genE9ELNS1_11target_archE1100ELNS1_3gpuE3ELNS1_3repE0EEENS1_30default_config_static_selectorELNS0_4arch9wavefront6targetE1EEEvSP_: ; @_ZN7rocprim17ROCPRIM_400000_NS6detail17trampoline_kernelINS0_14default_configENS1_22reduce_config_selectorIfEEZNS1_11reduce_implILb1ES3_N6thrust23THRUST_200600_302600_NS11hip_rocprim35transform_pair_of_input_iterators_tIfNS8_6detail15normal_iteratorINS8_10device_ptrIfEEEESF_8abs_diffIfEEEPffNS8_7maximumIfEEEE10hipError_tPvRmT1_T2_T3_mT4_P12ihipStream_tbEUlT_E1_NS1_11comp_targetILNS1_3genE9ELNS1_11target_archE1100ELNS1_3gpuE3ELNS1_3repE0EEENS1_30default_config_static_selectorELNS0_4arch9wavefront6targetE1EEEvSP_
; %bb.0:
	.section	.rodata,"a",@progbits
	.p2align	6, 0x0
	.amdhsa_kernel _ZN7rocprim17ROCPRIM_400000_NS6detail17trampoline_kernelINS0_14default_configENS1_22reduce_config_selectorIfEEZNS1_11reduce_implILb1ES3_N6thrust23THRUST_200600_302600_NS11hip_rocprim35transform_pair_of_input_iterators_tIfNS8_6detail15normal_iteratorINS8_10device_ptrIfEEEESF_8abs_diffIfEEEPffNS8_7maximumIfEEEE10hipError_tPvRmT1_T2_T3_mT4_P12ihipStream_tbEUlT_E1_NS1_11comp_targetILNS1_3genE9ELNS1_11target_archE1100ELNS1_3gpuE3ELNS1_3repE0EEENS1_30default_config_static_selectorELNS0_4arch9wavefront6targetE1EEEvSP_
		.amdhsa_group_segment_fixed_size 0
		.amdhsa_private_segment_fixed_size 0
		.amdhsa_kernarg_size 56
		.amdhsa_user_sgpr_count 6
		.amdhsa_user_sgpr_private_segment_buffer 1
		.amdhsa_user_sgpr_dispatch_ptr 0
		.amdhsa_user_sgpr_queue_ptr 0
		.amdhsa_user_sgpr_kernarg_segment_ptr 1
		.amdhsa_user_sgpr_dispatch_id 0
		.amdhsa_user_sgpr_flat_scratch_init 0
		.amdhsa_user_sgpr_kernarg_preload_length 0
		.amdhsa_user_sgpr_kernarg_preload_offset 0
		.amdhsa_user_sgpr_private_segment_size 0
		.amdhsa_uses_dynamic_stack 0
		.amdhsa_system_sgpr_private_segment_wavefront_offset 0
		.amdhsa_system_sgpr_workgroup_id_x 1
		.amdhsa_system_sgpr_workgroup_id_y 0
		.amdhsa_system_sgpr_workgroup_id_z 0
		.amdhsa_system_sgpr_workgroup_info 0
		.amdhsa_system_vgpr_workitem_id 0
		.amdhsa_next_free_vgpr 1
		.amdhsa_next_free_sgpr 0
		.amdhsa_accum_offset 4
		.amdhsa_reserve_vcc 0
		.amdhsa_reserve_flat_scratch 0
		.amdhsa_float_round_mode_32 0
		.amdhsa_float_round_mode_16_64 0
		.amdhsa_float_denorm_mode_32 3
		.amdhsa_float_denorm_mode_16_64 3
		.amdhsa_dx10_clamp 1
		.amdhsa_ieee_mode 1
		.amdhsa_fp16_overflow 0
		.amdhsa_tg_split 0
		.amdhsa_exception_fp_ieee_invalid_op 0
		.amdhsa_exception_fp_denorm_src 0
		.amdhsa_exception_fp_ieee_div_zero 0
		.amdhsa_exception_fp_ieee_overflow 0
		.amdhsa_exception_fp_ieee_underflow 0
		.amdhsa_exception_fp_ieee_inexact 0
		.amdhsa_exception_int_div_zero 0
	.end_amdhsa_kernel
	.section	.text._ZN7rocprim17ROCPRIM_400000_NS6detail17trampoline_kernelINS0_14default_configENS1_22reduce_config_selectorIfEEZNS1_11reduce_implILb1ES3_N6thrust23THRUST_200600_302600_NS11hip_rocprim35transform_pair_of_input_iterators_tIfNS8_6detail15normal_iteratorINS8_10device_ptrIfEEEESF_8abs_diffIfEEEPffNS8_7maximumIfEEEE10hipError_tPvRmT1_T2_T3_mT4_P12ihipStream_tbEUlT_E1_NS1_11comp_targetILNS1_3genE9ELNS1_11target_archE1100ELNS1_3gpuE3ELNS1_3repE0EEENS1_30default_config_static_selectorELNS0_4arch9wavefront6targetE1EEEvSP_,"axG",@progbits,_ZN7rocprim17ROCPRIM_400000_NS6detail17trampoline_kernelINS0_14default_configENS1_22reduce_config_selectorIfEEZNS1_11reduce_implILb1ES3_N6thrust23THRUST_200600_302600_NS11hip_rocprim35transform_pair_of_input_iterators_tIfNS8_6detail15normal_iteratorINS8_10device_ptrIfEEEESF_8abs_diffIfEEEPffNS8_7maximumIfEEEE10hipError_tPvRmT1_T2_T3_mT4_P12ihipStream_tbEUlT_E1_NS1_11comp_targetILNS1_3genE9ELNS1_11target_archE1100ELNS1_3gpuE3ELNS1_3repE0EEENS1_30default_config_static_selectorELNS0_4arch9wavefront6targetE1EEEvSP_,comdat
.Lfunc_end35:
	.size	_ZN7rocprim17ROCPRIM_400000_NS6detail17trampoline_kernelINS0_14default_configENS1_22reduce_config_selectorIfEEZNS1_11reduce_implILb1ES3_N6thrust23THRUST_200600_302600_NS11hip_rocprim35transform_pair_of_input_iterators_tIfNS8_6detail15normal_iteratorINS8_10device_ptrIfEEEESF_8abs_diffIfEEEPffNS8_7maximumIfEEEE10hipError_tPvRmT1_T2_T3_mT4_P12ihipStream_tbEUlT_E1_NS1_11comp_targetILNS1_3genE9ELNS1_11target_archE1100ELNS1_3gpuE3ELNS1_3repE0EEENS1_30default_config_static_selectorELNS0_4arch9wavefront6targetE1EEEvSP_, .Lfunc_end35-_ZN7rocprim17ROCPRIM_400000_NS6detail17trampoline_kernelINS0_14default_configENS1_22reduce_config_selectorIfEEZNS1_11reduce_implILb1ES3_N6thrust23THRUST_200600_302600_NS11hip_rocprim35transform_pair_of_input_iterators_tIfNS8_6detail15normal_iteratorINS8_10device_ptrIfEEEESF_8abs_diffIfEEEPffNS8_7maximumIfEEEE10hipError_tPvRmT1_T2_T3_mT4_P12ihipStream_tbEUlT_E1_NS1_11comp_targetILNS1_3genE9ELNS1_11target_archE1100ELNS1_3gpuE3ELNS1_3repE0EEENS1_30default_config_static_selectorELNS0_4arch9wavefront6targetE1EEEvSP_
                                        ; -- End function
	.section	.AMDGPU.csdata,"",@progbits
; Kernel info:
; codeLenInByte = 0
; NumSgprs: 4
; NumVgprs: 0
; NumAgprs: 0
; TotalNumVgprs: 0
; ScratchSize: 0
; MemoryBound: 0
; FloatMode: 240
; IeeeMode: 1
; LDSByteSize: 0 bytes/workgroup (compile time only)
; SGPRBlocks: 0
; VGPRBlocks: 0
; NumSGPRsForWavesPerEU: 4
; NumVGPRsForWavesPerEU: 1
; AccumOffset: 4
; Occupancy: 8
; WaveLimiterHint : 0
; COMPUTE_PGM_RSRC2:SCRATCH_EN: 0
; COMPUTE_PGM_RSRC2:USER_SGPR: 6
; COMPUTE_PGM_RSRC2:TRAP_HANDLER: 0
; COMPUTE_PGM_RSRC2:TGID_X_EN: 1
; COMPUTE_PGM_RSRC2:TGID_Y_EN: 0
; COMPUTE_PGM_RSRC2:TGID_Z_EN: 0
; COMPUTE_PGM_RSRC2:TIDIG_COMP_CNT: 0
; COMPUTE_PGM_RSRC3_GFX90A:ACCUM_OFFSET: 0
; COMPUTE_PGM_RSRC3_GFX90A:TG_SPLIT: 0
	.section	.text._ZN7rocprim17ROCPRIM_400000_NS6detail17trampoline_kernelINS0_14default_configENS1_22reduce_config_selectorIfEEZNS1_11reduce_implILb1ES3_N6thrust23THRUST_200600_302600_NS11hip_rocprim35transform_pair_of_input_iterators_tIfNS8_6detail15normal_iteratorINS8_10device_ptrIfEEEESF_8abs_diffIfEEEPffNS8_7maximumIfEEEE10hipError_tPvRmT1_T2_T3_mT4_P12ihipStream_tbEUlT_E1_NS1_11comp_targetILNS1_3genE8ELNS1_11target_archE1030ELNS1_3gpuE2ELNS1_3repE0EEENS1_30default_config_static_selectorELNS0_4arch9wavefront6targetE1EEEvSP_,"axG",@progbits,_ZN7rocprim17ROCPRIM_400000_NS6detail17trampoline_kernelINS0_14default_configENS1_22reduce_config_selectorIfEEZNS1_11reduce_implILb1ES3_N6thrust23THRUST_200600_302600_NS11hip_rocprim35transform_pair_of_input_iterators_tIfNS8_6detail15normal_iteratorINS8_10device_ptrIfEEEESF_8abs_diffIfEEEPffNS8_7maximumIfEEEE10hipError_tPvRmT1_T2_T3_mT4_P12ihipStream_tbEUlT_E1_NS1_11comp_targetILNS1_3genE8ELNS1_11target_archE1030ELNS1_3gpuE2ELNS1_3repE0EEENS1_30default_config_static_selectorELNS0_4arch9wavefront6targetE1EEEvSP_,comdat
	.protected	_ZN7rocprim17ROCPRIM_400000_NS6detail17trampoline_kernelINS0_14default_configENS1_22reduce_config_selectorIfEEZNS1_11reduce_implILb1ES3_N6thrust23THRUST_200600_302600_NS11hip_rocprim35transform_pair_of_input_iterators_tIfNS8_6detail15normal_iteratorINS8_10device_ptrIfEEEESF_8abs_diffIfEEEPffNS8_7maximumIfEEEE10hipError_tPvRmT1_T2_T3_mT4_P12ihipStream_tbEUlT_E1_NS1_11comp_targetILNS1_3genE8ELNS1_11target_archE1030ELNS1_3gpuE2ELNS1_3repE0EEENS1_30default_config_static_selectorELNS0_4arch9wavefront6targetE1EEEvSP_ ; -- Begin function _ZN7rocprim17ROCPRIM_400000_NS6detail17trampoline_kernelINS0_14default_configENS1_22reduce_config_selectorIfEEZNS1_11reduce_implILb1ES3_N6thrust23THRUST_200600_302600_NS11hip_rocprim35transform_pair_of_input_iterators_tIfNS8_6detail15normal_iteratorINS8_10device_ptrIfEEEESF_8abs_diffIfEEEPffNS8_7maximumIfEEEE10hipError_tPvRmT1_T2_T3_mT4_P12ihipStream_tbEUlT_E1_NS1_11comp_targetILNS1_3genE8ELNS1_11target_archE1030ELNS1_3gpuE2ELNS1_3repE0EEENS1_30default_config_static_selectorELNS0_4arch9wavefront6targetE1EEEvSP_
	.globl	_ZN7rocprim17ROCPRIM_400000_NS6detail17trampoline_kernelINS0_14default_configENS1_22reduce_config_selectorIfEEZNS1_11reduce_implILb1ES3_N6thrust23THRUST_200600_302600_NS11hip_rocprim35transform_pair_of_input_iterators_tIfNS8_6detail15normal_iteratorINS8_10device_ptrIfEEEESF_8abs_diffIfEEEPffNS8_7maximumIfEEEE10hipError_tPvRmT1_T2_T3_mT4_P12ihipStream_tbEUlT_E1_NS1_11comp_targetILNS1_3genE8ELNS1_11target_archE1030ELNS1_3gpuE2ELNS1_3repE0EEENS1_30default_config_static_selectorELNS0_4arch9wavefront6targetE1EEEvSP_
	.p2align	8
	.type	_ZN7rocprim17ROCPRIM_400000_NS6detail17trampoline_kernelINS0_14default_configENS1_22reduce_config_selectorIfEEZNS1_11reduce_implILb1ES3_N6thrust23THRUST_200600_302600_NS11hip_rocprim35transform_pair_of_input_iterators_tIfNS8_6detail15normal_iteratorINS8_10device_ptrIfEEEESF_8abs_diffIfEEEPffNS8_7maximumIfEEEE10hipError_tPvRmT1_T2_T3_mT4_P12ihipStream_tbEUlT_E1_NS1_11comp_targetILNS1_3genE8ELNS1_11target_archE1030ELNS1_3gpuE2ELNS1_3repE0EEENS1_30default_config_static_selectorELNS0_4arch9wavefront6targetE1EEEvSP_,@function
_ZN7rocprim17ROCPRIM_400000_NS6detail17trampoline_kernelINS0_14default_configENS1_22reduce_config_selectorIfEEZNS1_11reduce_implILb1ES3_N6thrust23THRUST_200600_302600_NS11hip_rocprim35transform_pair_of_input_iterators_tIfNS8_6detail15normal_iteratorINS8_10device_ptrIfEEEESF_8abs_diffIfEEEPffNS8_7maximumIfEEEE10hipError_tPvRmT1_T2_T3_mT4_P12ihipStream_tbEUlT_E1_NS1_11comp_targetILNS1_3genE8ELNS1_11target_archE1030ELNS1_3gpuE2ELNS1_3repE0EEENS1_30default_config_static_selectorELNS0_4arch9wavefront6targetE1EEEvSP_: ; @_ZN7rocprim17ROCPRIM_400000_NS6detail17trampoline_kernelINS0_14default_configENS1_22reduce_config_selectorIfEEZNS1_11reduce_implILb1ES3_N6thrust23THRUST_200600_302600_NS11hip_rocprim35transform_pair_of_input_iterators_tIfNS8_6detail15normal_iteratorINS8_10device_ptrIfEEEESF_8abs_diffIfEEEPffNS8_7maximumIfEEEE10hipError_tPvRmT1_T2_T3_mT4_P12ihipStream_tbEUlT_E1_NS1_11comp_targetILNS1_3genE8ELNS1_11target_archE1030ELNS1_3gpuE2ELNS1_3repE0EEENS1_30default_config_static_selectorELNS0_4arch9wavefront6targetE1EEEvSP_
; %bb.0:
	.section	.rodata,"a",@progbits
	.p2align	6, 0x0
	.amdhsa_kernel _ZN7rocprim17ROCPRIM_400000_NS6detail17trampoline_kernelINS0_14default_configENS1_22reduce_config_selectorIfEEZNS1_11reduce_implILb1ES3_N6thrust23THRUST_200600_302600_NS11hip_rocprim35transform_pair_of_input_iterators_tIfNS8_6detail15normal_iteratorINS8_10device_ptrIfEEEESF_8abs_diffIfEEEPffNS8_7maximumIfEEEE10hipError_tPvRmT1_T2_T3_mT4_P12ihipStream_tbEUlT_E1_NS1_11comp_targetILNS1_3genE8ELNS1_11target_archE1030ELNS1_3gpuE2ELNS1_3repE0EEENS1_30default_config_static_selectorELNS0_4arch9wavefront6targetE1EEEvSP_
		.amdhsa_group_segment_fixed_size 0
		.amdhsa_private_segment_fixed_size 0
		.amdhsa_kernarg_size 56
		.amdhsa_user_sgpr_count 6
		.amdhsa_user_sgpr_private_segment_buffer 1
		.amdhsa_user_sgpr_dispatch_ptr 0
		.amdhsa_user_sgpr_queue_ptr 0
		.amdhsa_user_sgpr_kernarg_segment_ptr 1
		.amdhsa_user_sgpr_dispatch_id 0
		.amdhsa_user_sgpr_flat_scratch_init 0
		.amdhsa_user_sgpr_kernarg_preload_length 0
		.amdhsa_user_sgpr_kernarg_preload_offset 0
		.amdhsa_user_sgpr_private_segment_size 0
		.amdhsa_uses_dynamic_stack 0
		.amdhsa_system_sgpr_private_segment_wavefront_offset 0
		.amdhsa_system_sgpr_workgroup_id_x 1
		.amdhsa_system_sgpr_workgroup_id_y 0
		.amdhsa_system_sgpr_workgroup_id_z 0
		.amdhsa_system_sgpr_workgroup_info 0
		.amdhsa_system_vgpr_workitem_id 0
		.amdhsa_next_free_vgpr 1
		.amdhsa_next_free_sgpr 0
		.amdhsa_accum_offset 4
		.amdhsa_reserve_vcc 0
		.amdhsa_reserve_flat_scratch 0
		.amdhsa_float_round_mode_32 0
		.amdhsa_float_round_mode_16_64 0
		.amdhsa_float_denorm_mode_32 3
		.amdhsa_float_denorm_mode_16_64 3
		.amdhsa_dx10_clamp 1
		.amdhsa_ieee_mode 1
		.amdhsa_fp16_overflow 0
		.amdhsa_tg_split 0
		.amdhsa_exception_fp_ieee_invalid_op 0
		.amdhsa_exception_fp_denorm_src 0
		.amdhsa_exception_fp_ieee_div_zero 0
		.amdhsa_exception_fp_ieee_overflow 0
		.amdhsa_exception_fp_ieee_underflow 0
		.amdhsa_exception_fp_ieee_inexact 0
		.amdhsa_exception_int_div_zero 0
	.end_amdhsa_kernel
	.section	.text._ZN7rocprim17ROCPRIM_400000_NS6detail17trampoline_kernelINS0_14default_configENS1_22reduce_config_selectorIfEEZNS1_11reduce_implILb1ES3_N6thrust23THRUST_200600_302600_NS11hip_rocprim35transform_pair_of_input_iterators_tIfNS8_6detail15normal_iteratorINS8_10device_ptrIfEEEESF_8abs_diffIfEEEPffNS8_7maximumIfEEEE10hipError_tPvRmT1_T2_T3_mT4_P12ihipStream_tbEUlT_E1_NS1_11comp_targetILNS1_3genE8ELNS1_11target_archE1030ELNS1_3gpuE2ELNS1_3repE0EEENS1_30default_config_static_selectorELNS0_4arch9wavefront6targetE1EEEvSP_,"axG",@progbits,_ZN7rocprim17ROCPRIM_400000_NS6detail17trampoline_kernelINS0_14default_configENS1_22reduce_config_selectorIfEEZNS1_11reduce_implILb1ES3_N6thrust23THRUST_200600_302600_NS11hip_rocprim35transform_pair_of_input_iterators_tIfNS8_6detail15normal_iteratorINS8_10device_ptrIfEEEESF_8abs_diffIfEEEPffNS8_7maximumIfEEEE10hipError_tPvRmT1_T2_T3_mT4_P12ihipStream_tbEUlT_E1_NS1_11comp_targetILNS1_3genE8ELNS1_11target_archE1030ELNS1_3gpuE2ELNS1_3repE0EEENS1_30default_config_static_selectorELNS0_4arch9wavefront6targetE1EEEvSP_,comdat
.Lfunc_end36:
	.size	_ZN7rocprim17ROCPRIM_400000_NS6detail17trampoline_kernelINS0_14default_configENS1_22reduce_config_selectorIfEEZNS1_11reduce_implILb1ES3_N6thrust23THRUST_200600_302600_NS11hip_rocprim35transform_pair_of_input_iterators_tIfNS8_6detail15normal_iteratorINS8_10device_ptrIfEEEESF_8abs_diffIfEEEPffNS8_7maximumIfEEEE10hipError_tPvRmT1_T2_T3_mT4_P12ihipStream_tbEUlT_E1_NS1_11comp_targetILNS1_3genE8ELNS1_11target_archE1030ELNS1_3gpuE2ELNS1_3repE0EEENS1_30default_config_static_selectorELNS0_4arch9wavefront6targetE1EEEvSP_, .Lfunc_end36-_ZN7rocprim17ROCPRIM_400000_NS6detail17trampoline_kernelINS0_14default_configENS1_22reduce_config_selectorIfEEZNS1_11reduce_implILb1ES3_N6thrust23THRUST_200600_302600_NS11hip_rocprim35transform_pair_of_input_iterators_tIfNS8_6detail15normal_iteratorINS8_10device_ptrIfEEEESF_8abs_diffIfEEEPffNS8_7maximumIfEEEE10hipError_tPvRmT1_T2_T3_mT4_P12ihipStream_tbEUlT_E1_NS1_11comp_targetILNS1_3genE8ELNS1_11target_archE1030ELNS1_3gpuE2ELNS1_3repE0EEENS1_30default_config_static_selectorELNS0_4arch9wavefront6targetE1EEEvSP_
                                        ; -- End function
	.section	.AMDGPU.csdata,"",@progbits
; Kernel info:
; codeLenInByte = 0
; NumSgprs: 4
; NumVgprs: 0
; NumAgprs: 0
; TotalNumVgprs: 0
; ScratchSize: 0
; MemoryBound: 0
; FloatMode: 240
; IeeeMode: 1
; LDSByteSize: 0 bytes/workgroup (compile time only)
; SGPRBlocks: 0
; VGPRBlocks: 0
; NumSGPRsForWavesPerEU: 4
; NumVGPRsForWavesPerEU: 1
; AccumOffset: 4
; Occupancy: 8
; WaveLimiterHint : 0
; COMPUTE_PGM_RSRC2:SCRATCH_EN: 0
; COMPUTE_PGM_RSRC2:USER_SGPR: 6
; COMPUTE_PGM_RSRC2:TRAP_HANDLER: 0
; COMPUTE_PGM_RSRC2:TGID_X_EN: 1
; COMPUTE_PGM_RSRC2:TGID_Y_EN: 0
; COMPUTE_PGM_RSRC2:TGID_Z_EN: 0
; COMPUTE_PGM_RSRC2:TIDIG_COMP_CNT: 0
; COMPUTE_PGM_RSRC3_GFX90A:ACCUM_OFFSET: 0
; COMPUTE_PGM_RSRC3_GFX90A:TG_SPLIT: 0
	.text
	.p2alignl 6, 3212836864
	.fill 256, 4, 3212836864
	.type	__hip_cuid_676ba4d8dd681438,@object ; @__hip_cuid_676ba4d8dd681438
	.section	.bss,"aw",@nobits
	.globl	__hip_cuid_676ba4d8dd681438
__hip_cuid_676ba4d8dd681438:
	.byte	0                               ; 0x0
	.size	__hip_cuid_676ba4d8dd681438, 1

	.ident	"AMD clang version 19.0.0git (https://github.com/RadeonOpenCompute/llvm-project roc-6.4.0 25133 c7fe45cf4b819c5991fe208aaa96edf142730f1d)"
	.section	".note.GNU-stack","",@progbits
	.addrsig
	.addrsig_sym __hip_cuid_676ba4d8dd681438
	.amdgpu_metadata
---
amdhsa.kernels:
  - .agpr_count:     0
    .args:
      - .offset:         0
        .size:           16
        .value_kind:     by_value
      - .offset:         16
        .size:           8
        .value_kind:     by_value
      - .offset:         24
        .size:           8
        .value_kind:     by_value
    .group_segment_fixed_size: 0
    .kernarg_segment_align: 8
    .kernarg_segment_size: 32
    .language:       OpenCL C
    .language_version:
      - 2
      - 0
    .max_flat_workgroup_size: 256
    .name:           _ZN6thrust23THRUST_200600_302600_NS11hip_rocprim14__parallel_for6kernelILj256ENS1_20__uninitialized_fill7functorINS0_10device_ptrIfEEfEEmLj1EEEvT0_T1_SA_
    .private_segment_fixed_size: 0
    .sgpr_count:     16
    .sgpr_spill_count: 0
    .symbol:         _ZN6thrust23THRUST_200600_302600_NS11hip_rocprim14__parallel_for6kernelILj256ENS1_20__uninitialized_fill7functorINS0_10device_ptrIfEEfEEmLj1EEEvT0_T1_SA_.kd
    .uniform_work_group_size: 1
    .uses_dynamic_stack: false
    .vgpr_count:     4
    .vgpr_spill_count: 0
    .wavefront_size: 64
  - .agpr_count:     0
    .args:
      - .offset:         0
        .size:           56
        .value_kind:     by_value
    .group_segment_fixed_size: 0
    .kernarg_segment_align: 8
    .kernarg_segment_size: 56
    .language:       OpenCL C
    .language_version:
      - 2
      - 0
    .max_flat_workgroup_size: 256
    .name:           _ZN7rocprim17ROCPRIM_400000_NS6detail17trampoline_kernelINS0_14default_configENS1_22reduce_config_selectorIfEEZNS1_11reduce_implILb1ES3_PfS7_fN6thrust23THRUST_200600_302600_NS7maximumIfEEEE10hipError_tPvRmT1_T2_T3_mT4_P12ihipStream_tbEUlT_E0_NS1_11comp_targetILNS1_3genE0ELNS1_11target_archE4294967295ELNS1_3gpuE0ELNS1_3repE0EEENS1_30default_config_static_selectorELNS0_4arch9wavefront6targetE1EEEvSF_
    .private_segment_fixed_size: 0
    .sgpr_count:     4
    .sgpr_spill_count: 0
    .symbol:         _ZN7rocprim17ROCPRIM_400000_NS6detail17trampoline_kernelINS0_14default_configENS1_22reduce_config_selectorIfEEZNS1_11reduce_implILb1ES3_PfS7_fN6thrust23THRUST_200600_302600_NS7maximumIfEEEE10hipError_tPvRmT1_T2_T3_mT4_P12ihipStream_tbEUlT_E0_NS1_11comp_targetILNS1_3genE0ELNS1_11target_archE4294967295ELNS1_3gpuE0ELNS1_3repE0EEENS1_30default_config_static_selectorELNS0_4arch9wavefront6targetE1EEEvSF_.kd
    .uniform_work_group_size: 1
    .uses_dynamic_stack: false
    .vgpr_count:     0
    .vgpr_spill_count: 0
    .wavefront_size: 64
  - .agpr_count:     0
    .args:
      - .offset:         0
        .size:           56
        .value_kind:     by_value
    .group_segment_fixed_size: 0
    .kernarg_segment_align: 8
    .kernarg_segment_size: 56
    .language:       OpenCL C
    .language_version:
      - 2
      - 0
    .max_flat_workgroup_size: 128
    .name:           _ZN7rocprim17ROCPRIM_400000_NS6detail17trampoline_kernelINS0_14default_configENS1_22reduce_config_selectorIfEEZNS1_11reduce_implILb1ES3_PfS7_fN6thrust23THRUST_200600_302600_NS7maximumIfEEEE10hipError_tPvRmT1_T2_T3_mT4_P12ihipStream_tbEUlT_E0_NS1_11comp_targetILNS1_3genE5ELNS1_11target_archE942ELNS1_3gpuE9ELNS1_3repE0EEENS1_30default_config_static_selectorELNS0_4arch9wavefront6targetE1EEEvSF_
    .private_segment_fixed_size: 0
    .sgpr_count:     4
    .sgpr_spill_count: 0
    .symbol:         _ZN7rocprim17ROCPRIM_400000_NS6detail17trampoline_kernelINS0_14default_configENS1_22reduce_config_selectorIfEEZNS1_11reduce_implILb1ES3_PfS7_fN6thrust23THRUST_200600_302600_NS7maximumIfEEEE10hipError_tPvRmT1_T2_T3_mT4_P12ihipStream_tbEUlT_E0_NS1_11comp_targetILNS1_3genE5ELNS1_11target_archE942ELNS1_3gpuE9ELNS1_3repE0EEENS1_30default_config_static_selectorELNS0_4arch9wavefront6targetE1EEEvSF_.kd
    .uniform_work_group_size: 1
    .uses_dynamic_stack: false
    .vgpr_count:     0
    .vgpr_spill_count: 0
    .wavefront_size: 64
  - .agpr_count:     0
    .args:
      - .offset:         0
        .size:           56
        .value_kind:     by_value
    .group_segment_fixed_size: 16
    .kernarg_segment_align: 8
    .kernarg_segment_size: 56
    .language:       OpenCL C
    .language_version:
      - 2
      - 0
    .max_flat_workgroup_size: 128
    .name:           _ZN7rocprim17ROCPRIM_400000_NS6detail17trampoline_kernelINS0_14default_configENS1_22reduce_config_selectorIfEEZNS1_11reduce_implILb1ES3_PfS7_fN6thrust23THRUST_200600_302600_NS7maximumIfEEEE10hipError_tPvRmT1_T2_T3_mT4_P12ihipStream_tbEUlT_E0_NS1_11comp_targetILNS1_3genE4ELNS1_11target_archE910ELNS1_3gpuE8ELNS1_3repE0EEENS1_30default_config_static_selectorELNS0_4arch9wavefront6targetE1EEEvSF_
    .private_segment_fixed_size: 0
    .sgpr_count:     32
    .sgpr_spill_count: 0
    .symbol:         _ZN7rocprim17ROCPRIM_400000_NS6detail17trampoline_kernelINS0_14default_configENS1_22reduce_config_selectorIfEEZNS1_11reduce_implILb1ES3_PfS7_fN6thrust23THRUST_200600_302600_NS7maximumIfEEEE10hipError_tPvRmT1_T2_T3_mT4_P12ihipStream_tbEUlT_E0_NS1_11comp_targetILNS1_3genE4ELNS1_11target_archE910ELNS1_3gpuE8ELNS1_3repE0EEENS1_30default_config_static_selectorELNS0_4arch9wavefront6targetE1EEEvSF_.kd
    .uniform_work_group_size: 1
    .uses_dynamic_stack: false
    .vgpr_count:     13
    .vgpr_spill_count: 0
    .wavefront_size: 64
  - .agpr_count:     0
    .args:
      - .offset:         0
        .size:           56
        .value_kind:     by_value
    .group_segment_fixed_size: 0
    .kernarg_segment_align: 8
    .kernarg_segment_size: 56
    .language:       OpenCL C
    .language_version:
      - 2
      - 0
    .max_flat_workgroup_size: 256
    .name:           _ZN7rocprim17ROCPRIM_400000_NS6detail17trampoline_kernelINS0_14default_configENS1_22reduce_config_selectorIfEEZNS1_11reduce_implILb1ES3_PfS7_fN6thrust23THRUST_200600_302600_NS7maximumIfEEEE10hipError_tPvRmT1_T2_T3_mT4_P12ihipStream_tbEUlT_E0_NS1_11comp_targetILNS1_3genE3ELNS1_11target_archE908ELNS1_3gpuE7ELNS1_3repE0EEENS1_30default_config_static_selectorELNS0_4arch9wavefront6targetE1EEEvSF_
    .private_segment_fixed_size: 0
    .sgpr_count:     4
    .sgpr_spill_count: 0
    .symbol:         _ZN7rocprim17ROCPRIM_400000_NS6detail17trampoline_kernelINS0_14default_configENS1_22reduce_config_selectorIfEEZNS1_11reduce_implILb1ES3_PfS7_fN6thrust23THRUST_200600_302600_NS7maximumIfEEEE10hipError_tPvRmT1_T2_T3_mT4_P12ihipStream_tbEUlT_E0_NS1_11comp_targetILNS1_3genE3ELNS1_11target_archE908ELNS1_3gpuE7ELNS1_3repE0EEENS1_30default_config_static_selectorELNS0_4arch9wavefront6targetE1EEEvSF_.kd
    .uniform_work_group_size: 1
    .uses_dynamic_stack: false
    .vgpr_count:     0
    .vgpr_spill_count: 0
    .wavefront_size: 64
  - .agpr_count:     0
    .args:
      - .offset:         0
        .size:           56
        .value_kind:     by_value
    .group_segment_fixed_size: 0
    .kernarg_segment_align: 8
    .kernarg_segment_size: 56
    .language:       OpenCL C
    .language_version:
      - 2
      - 0
    .max_flat_workgroup_size: 256
    .name:           _ZN7rocprim17ROCPRIM_400000_NS6detail17trampoline_kernelINS0_14default_configENS1_22reduce_config_selectorIfEEZNS1_11reduce_implILb1ES3_PfS7_fN6thrust23THRUST_200600_302600_NS7maximumIfEEEE10hipError_tPvRmT1_T2_T3_mT4_P12ihipStream_tbEUlT_E0_NS1_11comp_targetILNS1_3genE2ELNS1_11target_archE906ELNS1_3gpuE6ELNS1_3repE0EEENS1_30default_config_static_selectorELNS0_4arch9wavefront6targetE1EEEvSF_
    .private_segment_fixed_size: 0
    .sgpr_count:     4
    .sgpr_spill_count: 0
    .symbol:         _ZN7rocprim17ROCPRIM_400000_NS6detail17trampoline_kernelINS0_14default_configENS1_22reduce_config_selectorIfEEZNS1_11reduce_implILb1ES3_PfS7_fN6thrust23THRUST_200600_302600_NS7maximumIfEEEE10hipError_tPvRmT1_T2_T3_mT4_P12ihipStream_tbEUlT_E0_NS1_11comp_targetILNS1_3genE2ELNS1_11target_archE906ELNS1_3gpuE6ELNS1_3repE0EEENS1_30default_config_static_selectorELNS0_4arch9wavefront6targetE1EEEvSF_.kd
    .uniform_work_group_size: 1
    .uses_dynamic_stack: false
    .vgpr_count:     0
    .vgpr_spill_count: 0
    .wavefront_size: 64
  - .agpr_count:     0
    .args:
      - .offset:         0
        .size:           56
        .value_kind:     by_value
    .group_segment_fixed_size: 0
    .kernarg_segment_align: 8
    .kernarg_segment_size: 56
    .language:       OpenCL C
    .language_version:
      - 2
      - 0
    .max_flat_workgroup_size: 256
    .name:           _ZN7rocprim17ROCPRIM_400000_NS6detail17trampoline_kernelINS0_14default_configENS1_22reduce_config_selectorIfEEZNS1_11reduce_implILb1ES3_PfS7_fN6thrust23THRUST_200600_302600_NS7maximumIfEEEE10hipError_tPvRmT1_T2_T3_mT4_P12ihipStream_tbEUlT_E0_NS1_11comp_targetILNS1_3genE10ELNS1_11target_archE1201ELNS1_3gpuE5ELNS1_3repE0EEENS1_30default_config_static_selectorELNS0_4arch9wavefront6targetE1EEEvSF_
    .private_segment_fixed_size: 0
    .sgpr_count:     4
    .sgpr_spill_count: 0
    .symbol:         _ZN7rocprim17ROCPRIM_400000_NS6detail17trampoline_kernelINS0_14default_configENS1_22reduce_config_selectorIfEEZNS1_11reduce_implILb1ES3_PfS7_fN6thrust23THRUST_200600_302600_NS7maximumIfEEEE10hipError_tPvRmT1_T2_T3_mT4_P12ihipStream_tbEUlT_E0_NS1_11comp_targetILNS1_3genE10ELNS1_11target_archE1201ELNS1_3gpuE5ELNS1_3repE0EEENS1_30default_config_static_selectorELNS0_4arch9wavefront6targetE1EEEvSF_.kd
    .uniform_work_group_size: 1
    .uses_dynamic_stack: false
    .vgpr_count:     0
    .vgpr_spill_count: 0
    .wavefront_size: 64
  - .agpr_count:     0
    .args:
      - .offset:         0
        .size:           56
        .value_kind:     by_value
    .group_segment_fixed_size: 0
    .kernarg_segment_align: 8
    .kernarg_segment_size: 56
    .language:       OpenCL C
    .language_version:
      - 2
      - 0
    .max_flat_workgroup_size: 256
    .name:           _ZN7rocprim17ROCPRIM_400000_NS6detail17trampoline_kernelINS0_14default_configENS1_22reduce_config_selectorIfEEZNS1_11reduce_implILb1ES3_PfS7_fN6thrust23THRUST_200600_302600_NS7maximumIfEEEE10hipError_tPvRmT1_T2_T3_mT4_P12ihipStream_tbEUlT_E0_NS1_11comp_targetILNS1_3genE10ELNS1_11target_archE1200ELNS1_3gpuE4ELNS1_3repE0EEENS1_30default_config_static_selectorELNS0_4arch9wavefront6targetE1EEEvSF_
    .private_segment_fixed_size: 0
    .sgpr_count:     4
    .sgpr_spill_count: 0
    .symbol:         _ZN7rocprim17ROCPRIM_400000_NS6detail17trampoline_kernelINS0_14default_configENS1_22reduce_config_selectorIfEEZNS1_11reduce_implILb1ES3_PfS7_fN6thrust23THRUST_200600_302600_NS7maximumIfEEEE10hipError_tPvRmT1_T2_T3_mT4_P12ihipStream_tbEUlT_E0_NS1_11comp_targetILNS1_3genE10ELNS1_11target_archE1200ELNS1_3gpuE4ELNS1_3repE0EEENS1_30default_config_static_selectorELNS0_4arch9wavefront6targetE1EEEvSF_.kd
    .uniform_work_group_size: 1
    .uses_dynamic_stack: false
    .vgpr_count:     0
    .vgpr_spill_count: 0
    .wavefront_size: 64
  - .agpr_count:     0
    .args:
      - .offset:         0
        .size:           56
        .value_kind:     by_value
    .group_segment_fixed_size: 0
    .kernarg_segment_align: 8
    .kernarg_segment_size: 56
    .language:       OpenCL C
    .language_version:
      - 2
      - 0
    .max_flat_workgroup_size: 256
    .name:           _ZN7rocprim17ROCPRIM_400000_NS6detail17trampoline_kernelINS0_14default_configENS1_22reduce_config_selectorIfEEZNS1_11reduce_implILb1ES3_PfS7_fN6thrust23THRUST_200600_302600_NS7maximumIfEEEE10hipError_tPvRmT1_T2_T3_mT4_P12ihipStream_tbEUlT_E0_NS1_11comp_targetILNS1_3genE9ELNS1_11target_archE1100ELNS1_3gpuE3ELNS1_3repE0EEENS1_30default_config_static_selectorELNS0_4arch9wavefront6targetE1EEEvSF_
    .private_segment_fixed_size: 0
    .sgpr_count:     4
    .sgpr_spill_count: 0
    .symbol:         _ZN7rocprim17ROCPRIM_400000_NS6detail17trampoline_kernelINS0_14default_configENS1_22reduce_config_selectorIfEEZNS1_11reduce_implILb1ES3_PfS7_fN6thrust23THRUST_200600_302600_NS7maximumIfEEEE10hipError_tPvRmT1_T2_T3_mT4_P12ihipStream_tbEUlT_E0_NS1_11comp_targetILNS1_3genE9ELNS1_11target_archE1100ELNS1_3gpuE3ELNS1_3repE0EEENS1_30default_config_static_selectorELNS0_4arch9wavefront6targetE1EEEvSF_.kd
    .uniform_work_group_size: 1
    .uses_dynamic_stack: false
    .vgpr_count:     0
    .vgpr_spill_count: 0
    .wavefront_size: 64
  - .agpr_count:     0
    .args:
      - .offset:         0
        .size:           56
        .value_kind:     by_value
    .group_segment_fixed_size: 0
    .kernarg_segment_align: 8
    .kernarg_segment_size: 56
    .language:       OpenCL C
    .language_version:
      - 2
      - 0
    .max_flat_workgroup_size: 256
    .name:           _ZN7rocprim17ROCPRIM_400000_NS6detail17trampoline_kernelINS0_14default_configENS1_22reduce_config_selectorIfEEZNS1_11reduce_implILb1ES3_PfS7_fN6thrust23THRUST_200600_302600_NS7maximumIfEEEE10hipError_tPvRmT1_T2_T3_mT4_P12ihipStream_tbEUlT_E0_NS1_11comp_targetILNS1_3genE8ELNS1_11target_archE1030ELNS1_3gpuE2ELNS1_3repE0EEENS1_30default_config_static_selectorELNS0_4arch9wavefront6targetE1EEEvSF_
    .private_segment_fixed_size: 0
    .sgpr_count:     4
    .sgpr_spill_count: 0
    .symbol:         _ZN7rocprim17ROCPRIM_400000_NS6detail17trampoline_kernelINS0_14default_configENS1_22reduce_config_selectorIfEEZNS1_11reduce_implILb1ES3_PfS7_fN6thrust23THRUST_200600_302600_NS7maximumIfEEEE10hipError_tPvRmT1_T2_T3_mT4_P12ihipStream_tbEUlT_E0_NS1_11comp_targetILNS1_3genE8ELNS1_11target_archE1030ELNS1_3gpuE2ELNS1_3repE0EEENS1_30default_config_static_selectorELNS0_4arch9wavefront6targetE1EEEvSF_.kd
    .uniform_work_group_size: 1
    .uses_dynamic_stack: false
    .vgpr_count:     0
    .vgpr_spill_count: 0
    .wavefront_size: 64
  - .agpr_count:     0
    .args:
      - .offset:         0
        .size:           40
        .value_kind:     by_value
    .group_segment_fixed_size: 0
    .kernarg_segment_align: 8
    .kernarg_segment_size: 40
    .language:       OpenCL C
    .language_version:
      - 2
      - 0
    .max_flat_workgroup_size: 256
    .name:           _ZN7rocprim17ROCPRIM_400000_NS6detail17trampoline_kernelINS0_14default_configENS1_22reduce_config_selectorIfEEZNS1_11reduce_implILb1ES3_PfS7_fN6thrust23THRUST_200600_302600_NS7maximumIfEEEE10hipError_tPvRmT1_T2_T3_mT4_P12ihipStream_tbEUlT_E1_NS1_11comp_targetILNS1_3genE0ELNS1_11target_archE4294967295ELNS1_3gpuE0ELNS1_3repE0EEENS1_30default_config_static_selectorELNS0_4arch9wavefront6targetE1EEEvSF_
    .private_segment_fixed_size: 0
    .sgpr_count:     4
    .sgpr_spill_count: 0
    .symbol:         _ZN7rocprim17ROCPRIM_400000_NS6detail17trampoline_kernelINS0_14default_configENS1_22reduce_config_selectorIfEEZNS1_11reduce_implILb1ES3_PfS7_fN6thrust23THRUST_200600_302600_NS7maximumIfEEEE10hipError_tPvRmT1_T2_T3_mT4_P12ihipStream_tbEUlT_E1_NS1_11comp_targetILNS1_3genE0ELNS1_11target_archE4294967295ELNS1_3gpuE0ELNS1_3repE0EEENS1_30default_config_static_selectorELNS0_4arch9wavefront6targetE1EEEvSF_.kd
    .uniform_work_group_size: 1
    .uses_dynamic_stack: false
    .vgpr_count:     0
    .vgpr_spill_count: 0
    .wavefront_size: 64
  - .agpr_count:     0
    .args:
      - .offset:         0
        .size:           40
        .value_kind:     by_value
    .group_segment_fixed_size: 0
    .kernarg_segment_align: 8
    .kernarg_segment_size: 40
    .language:       OpenCL C
    .language_version:
      - 2
      - 0
    .max_flat_workgroup_size: 128
    .name:           _ZN7rocprim17ROCPRIM_400000_NS6detail17trampoline_kernelINS0_14default_configENS1_22reduce_config_selectorIfEEZNS1_11reduce_implILb1ES3_PfS7_fN6thrust23THRUST_200600_302600_NS7maximumIfEEEE10hipError_tPvRmT1_T2_T3_mT4_P12ihipStream_tbEUlT_E1_NS1_11comp_targetILNS1_3genE5ELNS1_11target_archE942ELNS1_3gpuE9ELNS1_3repE0EEENS1_30default_config_static_selectorELNS0_4arch9wavefront6targetE1EEEvSF_
    .private_segment_fixed_size: 0
    .sgpr_count:     4
    .sgpr_spill_count: 0
    .symbol:         _ZN7rocprim17ROCPRIM_400000_NS6detail17trampoline_kernelINS0_14default_configENS1_22reduce_config_selectorIfEEZNS1_11reduce_implILb1ES3_PfS7_fN6thrust23THRUST_200600_302600_NS7maximumIfEEEE10hipError_tPvRmT1_T2_T3_mT4_P12ihipStream_tbEUlT_E1_NS1_11comp_targetILNS1_3genE5ELNS1_11target_archE942ELNS1_3gpuE9ELNS1_3repE0EEENS1_30default_config_static_selectorELNS0_4arch9wavefront6targetE1EEEvSF_.kd
    .uniform_work_group_size: 1
    .uses_dynamic_stack: false
    .vgpr_count:     0
    .vgpr_spill_count: 0
    .wavefront_size: 64
  - .agpr_count:     0
    .args:
      - .offset:         0
        .size:           40
        .value_kind:     by_value
    .group_segment_fixed_size: 56
    .kernarg_segment_align: 8
    .kernarg_segment_size: 40
    .language:       OpenCL C
    .language_version:
      - 2
      - 0
    .max_flat_workgroup_size: 128
    .name:           _ZN7rocprim17ROCPRIM_400000_NS6detail17trampoline_kernelINS0_14default_configENS1_22reduce_config_selectorIfEEZNS1_11reduce_implILb1ES3_PfS7_fN6thrust23THRUST_200600_302600_NS7maximumIfEEEE10hipError_tPvRmT1_T2_T3_mT4_P12ihipStream_tbEUlT_E1_NS1_11comp_targetILNS1_3genE4ELNS1_11target_archE910ELNS1_3gpuE8ELNS1_3repE0EEENS1_30default_config_static_selectorELNS0_4arch9wavefront6targetE1EEEvSF_
    .private_segment_fixed_size: 0
    .sgpr_count:     81
    .sgpr_spill_count: 0
    .symbol:         _ZN7rocprim17ROCPRIM_400000_NS6detail17trampoline_kernelINS0_14default_configENS1_22reduce_config_selectorIfEEZNS1_11reduce_implILb1ES3_PfS7_fN6thrust23THRUST_200600_302600_NS7maximumIfEEEE10hipError_tPvRmT1_T2_T3_mT4_P12ihipStream_tbEUlT_E1_NS1_11comp_targetILNS1_3genE4ELNS1_11target_archE910ELNS1_3gpuE8ELNS1_3repE0EEENS1_30default_config_static_selectorELNS0_4arch9wavefront6targetE1EEEvSF_.kd
    .uniform_work_group_size: 1
    .uses_dynamic_stack: false
    .vgpr_count:     35
    .vgpr_spill_count: 0
    .wavefront_size: 64
  - .agpr_count:     0
    .args:
      - .offset:         0
        .size:           40
        .value_kind:     by_value
    .group_segment_fixed_size: 0
    .kernarg_segment_align: 8
    .kernarg_segment_size: 40
    .language:       OpenCL C
    .language_version:
      - 2
      - 0
    .max_flat_workgroup_size: 256
    .name:           _ZN7rocprim17ROCPRIM_400000_NS6detail17trampoline_kernelINS0_14default_configENS1_22reduce_config_selectorIfEEZNS1_11reduce_implILb1ES3_PfS7_fN6thrust23THRUST_200600_302600_NS7maximumIfEEEE10hipError_tPvRmT1_T2_T3_mT4_P12ihipStream_tbEUlT_E1_NS1_11comp_targetILNS1_3genE3ELNS1_11target_archE908ELNS1_3gpuE7ELNS1_3repE0EEENS1_30default_config_static_selectorELNS0_4arch9wavefront6targetE1EEEvSF_
    .private_segment_fixed_size: 0
    .sgpr_count:     4
    .sgpr_spill_count: 0
    .symbol:         _ZN7rocprim17ROCPRIM_400000_NS6detail17trampoline_kernelINS0_14default_configENS1_22reduce_config_selectorIfEEZNS1_11reduce_implILb1ES3_PfS7_fN6thrust23THRUST_200600_302600_NS7maximumIfEEEE10hipError_tPvRmT1_T2_T3_mT4_P12ihipStream_tbEUlT_E1_NS1_11comp_targetILNS1_3genE3ELNS1_11target_archE908ELNS1_3gpuE7ELNS1_3repE0EEENS1_30default_config_static_selectorELNS0_4arch9wavefront6targetE1EEEvSF_.kd
    .uniform_work_group_size: 1
    .uses_dynamic_stack: false
    .vgpr_count:     0
    .vgpr_spill_count: 0
    .wavefront_size: 64
  - .agpr_count:     0
    .args:
      - .offset:         0
        .size:           40
        .value_kind:     by_value
    .group_segment_fixed_size: 0
    .kernarg_segment_align: 8
    .kernarg_segment_size: 40
    .language:       OpenCL C
    .language_version:
      - 2
      - 0
    .max_flat_workgroup_size: 256
    .name:           _ZN7rocprim17ROCPRIM_400000_NS6detail17trampoline_kernelINS0_14default_configENS1_22reduce_config_selectorIfEEZNS1_11reduce_implILb1ES3_PfS7_fN6thrust23THRUST_200600_302600_NS7maximumIfEEEE10hipError_tPvRmT1_T2_T3_mT4_P12ihipStream_tbEUlT_E1_NS1_11comp_targetILNS1_3genE2ELNS1_11target_archE906ELNS1_3gpuE6ELNS1_3repE0EEENS1_30default_config_static_selectorELNS0_4arch9wavefront6targetE1EEEvSF_
    .private_segment_fixed_size: 0
    .sgpr_count:     4
    .sgpr_spill_count: 0
    .symbol:         _ZN7rocprim17ROCPRIM_400000_NS6detail17trampoline_kernelINS0_14default_configENS1_22reduce_config_selectorIfEEZNS1_11reduce_implILb1ES3_PfS7_fN6thrust23THRUST_200600_302600_NS7maximumIfEEEE10hipError_tPvRmT1_T2_T3_mT4_P12ihipStream_tbEUlT_E1_NS1_11comp_targetILNS1_3genE2ELNS1_11target_archE906ELNS1_3gpuE6ELNS1_3repE0EEENS1_30default_config_static_selectorELNS0_4arch9wavefront6targetE1EEEvSF_.kd
    .uniform_work_group_size: 1
    .uses_dynamic_stack: false
    .vgpr_count:     0
    .vgpr_spill_count: 0
    .wavefront_size: 64
  - .agpr_count:     0
    .args:
      - .offset:         0
        .size:           40
        .value_kind:     by_value
    .group_segment_fixed_size: 0
    .kernarg_segment_align: 8
    .kernarg_segment_size: 40
    .language:       OpenCL C
    .language_version:
      - 2
      - 0
    .max_flat_workgroup_size: 256
    .name:           _ZN7rocprim17ROCPRIM_400000_NS6detail17trampoline_kernelINS0_14default_configENS1_22reduce_config_selectorIfEEZNS1_11reduce_implILb1ES3_PfS7_fN6thrust23THRUST_200600_302600_NS7maximumIfEEEE10hipError_tPvRmT1_T2_T3_mT4_P12ihipStream_tbEUlT_E1_NS1_11comp_targetILNS1_3genE10ELNS1_11target_archE1201ELNS1_3gpuE5ELNS1_3repE0EEENS1_30default_config_static_selectorELNS0_4arch9wavefront6targetE1EEEvSF_
    .private_segment_fixed_size: 0
    .sgpr_count:     4
    .sgpr_spill_count: 0
    .symbol:         _ZN7rocprim17ROCPRIM_400000_NS6detail17trampoline_kernelINS0_14default_configENS1_22reduce_config_selectorIfEEZNS1_11reduce_implILb1ES3_PfS7_fN6thrust23THRUST_200600_302600_NS7maximumIfEEEE10hipError_tPvRmT1_T2_T3_mT4_P12ihipStream_tbEUlT_E1_NS1_11comp_targetILNS1_3genE10ELNS1_11target_archE1201ELNS1_3gpuE5ELNS1_3repE0EEENS1_30default_config_static_selectorELNS0_4arch9wavefront6targetE1EEEvSF_.kd
    .uniform_work_group_size: 1
    .uses_dynamic_stack: false
    .vgpr_count:     0
    .vgpr_spill_count: 0
    .wavefront_size: 64
  - .agpr_count:     0
    .args:
      - .offset:         0
        .size:           40
        .value_kind:     by_value
    .group_segment_fixed_size: 0
    .kernarg_segment_align: 8
    .kernarg_segment_size: 40
    .language:       OpenCL C
    .language_version:
      - 2
      - 0
    .max_flat_workgroup_size: 256
    .name:           _ZN7rocprim17ROCPRIM_400000_NS6detail17trampoline_kernelINS0_14default_configENS1_22reduce_config_selectorIfEEZNS1_11reduce_implILb1ES3_PfS7_fN6thrust23THRUST_200600_302600_NS7maximumIfEEEE10hipError_tPvRmT1_T2_T3_mT4_P12ihipStream_tbEUlT_E1_NS1_11comp_targetILNS1_3genE10ELNS1_11target_archE1200ELNS1_3gpuE4ELNS1_3repE0EEENS1_30default_config_static_selectorELNS0_4arch9wavefront6targetE1EEEvSF_
    .private_segment_fixed_size: 0
    .sgpr_count:     4
    .sgpr_spill_count: 0
    .symbol:         _ZN7rocprim17ROCPRIM_400000_NS6detail17trampoline_kernelINS0_14default_configENS1_22reduce_config_selectorIfEEZNS1_11reduce_implILb1ES3_PfS7_fN6thrust23THRUST_200600_302600_NS7maximumIfEEEE10hipError_tPvRmT1_T2_T3_mT4_P12ihipStream_tbEUlT_E1_NS1_11comp_targetILNS1_3genE10ELNS1_11target_archE1200ELNS1_3gpuE4ELNS1_3repE0EEENS1_30default_config_static_selectorELNS0_4arch9wavefront6targetE1EEEvSF_.kd
    .uniform_work_group_size: 1
    .uses_dynamic_stack: false
    .vgpr_count:     0
    .vgpr_spill_count: 0
    .wavefront_size: 64
  - .agpr_count:     0
    .args:
      - .offset:         0
        .size:           40
        .value_kind:     by_value
    .group_segment_fixed_size: 0
    .kernarg_segment_align: 8
    .kernarg_segment_size: 40
    .language:       OpenCL C
    .language_version:
      - 2
      - 0
    .max_flat_workgroup_size: 256
    .name:           _ZN7rocprim17ROCPRIM_400000_NS6detail17trampoline_kernelINS0_14default_configENS1_22reduce_config_selectorIfEEZNS1_11reduce_implILb1ES3_PfS7_fN6thrust23THRUST_200600_302600_NS7maximumIfEEEE10hipError_tPvRmT1_T2_T3_mT4_P12ihipStream_tbEUlT_E1_NS1_11comp_targetILNS1_3genE9ELNS1_11target_archE1100ELNS1_3gpuE3ELNS1_3repE0EEENS1_30default_config_static_selectorELNS0_4arch9wavefront6targetE1EEEvSF_
    .private_segment_fixed_size: 0
    .sgpr_count:     4
    .sgpr_spill_count: 0
    .symbol:         _ZN7rocprim17ROCPRIM_400000_NS6detail17trampoline_kernelINS0_14default_configENS1_22reduce_config_selectorIfEEZNS1_11reduce_implILb1ES3_PfS7_fN6thrust23THRUST_200600_302600_NS7maximumIfEEEE10hipError_tPvRmT1_T2_T3_mT4_P12ihipStream_tbEUlT_E1_NS1_11comp_targetILNS1_3genE9ELNS1_11target_archE1100ELNS1_3gpuE3ELNS1_3repE0EEENS1_30default_config_static_selectorELNS0_4arch9wavefront6targetE1EEEvSF_.kd
    .uniform_work_group_size: 1
    .uses_dynamic_stack: false
    .vgpr_count:     0
    .vgpr_spill_count: 0
    .wavefront_size: 64
  - .agpr_count:     0
    .args:
      - .offset:         0
        .size:           40
        .value_kind:     by_value
    .group_segment_fixed_size: 0
    .kernarg_segment_align: 8
    .kernarg_segment_size: 40
    .language:       OpenCL C
    .language_version:
      - 2
      - 0
    .max_flat_workgroup_size: 256
    .name:           _ZN7rocprim17ROCPRIM_400000_NS6detail17trampoline_kernelINS0_14default_configENS1_22reduce_config_selectorIfEEZNS1_11reduce_implILb1ES3_PfS7_fN6thrust23THRUST_200600_302600_NS7maximumIfEEEE10hipError_tPvRmT1_T2_T3_mT4_P12ihipStream_tbEUlT_E1_NS1_11comp_targetILNS1_3genE8ELNS1_11target_archE1030ELNS1_3gpuE2ELNS1_3repE0EEENS1_30default_config_static_selectorELNS0_4arch9wavefront6targetE1EEEvSF_
    .private_segment_fixed_size: 0
    .sgpr_count:     4
    .sgpr_spill_count: 0
    .symbol:         _ZN7rocprim17ROCPRIM_400000_NS6detail17trampoline_kernelINS0_14default_configENS1_22reduce_config_selectorIfEEZNS1_11reduce_implILb1ES3_PfS7_fN6thrust23THRUST_200600_302600_NS7maximumIfEEEE10hipError_tPvRmT1_T2_T3_mT4_P12ihipStream_tbEUlT_E1_NS1_11comp_targetILNS1_3genE8ELNS1_11target_archE1030ELNS1_3gpuE2ELNS1_3repE0EEENS1_30default_config_static_selectorELNS0_4arch9wavefront6targetE1EEEvSF_.kd
    .uniform_work_group_size: 1
    .uses_dynamic_stack: false
    .vgpr_count:     0
    .vgpr_spill_count: 0
    .wavefront_size: 64
  - .agpr_count:     0
    .args:
      - .offset:         0
        .size:           72
        .value_kind:     by_value
    .group_segment_fixed_size: 0
    .kernarg_segment_align: 8
    .kernarg_segment_size: 72
    .language:       OpenCL C
    .language_version:
      - 2
      - 0
    .max_flat_workgroup_size: 256
    .name:           _ZN7rocprim17ROCPRIM_400000_NS6detail17trampoline_kernelINS0_14default_configENS1_22reduce_config_selectorIfEEZNS1_11reduce_implILb1ES3_N6thrust23THRUST_200600_302600_NS11hip_rocprim35transform_pair_of_input_iterators_tIfNS8_6detail15normal_iteratorINS8_10device_ptrIfEEEESF_8abs_diffIfEEEPffNS8_7maximumIfEEEE10hipError_tPvRmT1_T2_T3_mT4_P12ihipStream_tbEUlT_E0_NS1_11comp_targetILNS1_3genE0ELNS1_11target_archE4294967295ELNS1_3gpuE0ELNS1_3repE0EEENS1_30default_config_static_selectorELNS0_4arch9wavefront6targetE1EEEvSP_
    .private_segment_fixed_size: 0
    .sgpr_count:     4
    .sgpr_spill_count: 0
    .symbol:         _ZN7rocprim17ROCPRIM_400000_NS6detail17trampoline_kernelINS0_14default_configENS1_22reduce_config_selectorIfEEZNS1_11reduce_implILb1ES3_N6thrust23THRUST_200600_302600_NS11hip_rocprim35transform_pair_of_input_iterators_tIfNS8_6detail15normal_iteratorINS8_10device_ptrIfEEEESF_8abs_diffIfEEEPffNS8_7maximumIfEEEE10hipError_tPvRmT1_T2_T3_mT4_P12ihipStream_tbEUlT_E0_NS1_11comp_targetILNS1_3genE0ELNS1_11target_archE4294967295ELNS1_3gpuE0ELNS1_3repE0EEENS1_30default_config_static_selectorELNS0_4arch9wavefront6targetE1EEEvSP_.kd
    .uniform_work_group_size: 1
    .uses_dynamic_stack: false
    .vgpr_count:     0
    .vgpr_spill_count: 0
    .wavefront_size: 64
  - .agpr_count:     0
    .args:
      - .offset:         0
        .size:           72
        .value_kind:     by_value
    .group_segment_fixed_size: 0
    .kernarg_segment_align: 8
    .kernarg_segment_size: 72
    .language:       OpenCL C
    .language_version:
      - 2
      - 0
    .max_flat_workgroup_size: 128
    .name:           _ZN7rocprim17ROCPRIM_400000_NS6detail17trampoline_kernelINS0_14default_configENS1_22reduce_config_selectorIfEEZNS1_11reduce_implILb1ES3_N6thrust23THRUST_200600_302600_NS11hip_rocprim35transform_pair_of_input_iterators_tIfNS8_6detail15normal_iteratorINS8_10device_ptrIfEEEESF_8abs_diffIfEEEPffNS8_7maximumIfEEEE10hipError_tPvRmT1_T2_T3_mT4_P12ihipStream_tbEUlT_E0_NS1_11comp_targetILNS1_3genE5ELNS1_11target_archE942ELNS1_3gpuE9ELNS1_3repE0EEENS1_30default_config_static_selectorELNS0_4arch9wavefront6targetE1EEEvSP_
    .private_segment_fixed_size: 0
    .sgpr_count:     4
    .sgpr_spill_count: 0
    .symbol:         _ZN7rocprim17ROCPRIM_400000_NS6detail17trampoline_kernelINS0_14default_configENS1_22reduce_config_selectorIfEEZNS1_11reduce_implILb1ES3_N6thrust23THRUST_200600_302600_NS11hip_rocprim35transform_pair_of_input_iterators_tIfNS8_6detail15normal_iteratorINS8_10device_ptrIfEEEESF_8abs_diffIfEEEPffNS8_7maximumIfEEEE10hipError_tPvRmT1_T2_T3_mT4_P12ihipStream_tbEUlT_E0_NS1_11comp_targetILNS1_3genE5ELNS1_11target_archE942ELNS1_3gpuE9ELNS1_3repE0EEENS1_30default_config_static_selectorELNS0_4arch9wavefront6targetE1EEEvSP_.kd
    .uniform_work_group_size: 1
    .uses_dynamic_stack: false
    .vgpr_count:     0
    .vgpr_spill_count: 0
    .wavefront_size: 64
  - .agpr_count:     0
    .args:
      - .offset:         0
        .size:           72
        .value_kind:     by_value
    .group_segment_fixed_size: 16
    .kernarg_segment_align: 8
    .kernarg_segment_size: 72
    .language:       OpenCL C
    .language_version:
      - 2
      - 0
    .max_flat_workgroup_size: 128
    .name:           _ZN7rocprim17ROCPRIM_400000_NS6detail17trampoline_kernelINS0_14default_configENS1_22reduce_config_selectorIfEEZNS1_11reduce_implILb1ES3_N6thrust23THRUST_200600_302600_NS11hip_rocprim35transform_pair_of_input_iterators_tIfNS8_6detail15normal_iteratorINS8_10device_ptrIfEEEESF_8abs_diffIfEEEPffNS8_7maximumIfEEEE10hipError_tPvRmT1_T2_T3_mT4_P12ihipStream_tbEUlT_E0_NS1_11comp_targetILNS1_3genE4ELNS1_11target_archE910ELNS1_3gpuE8ELNS1_3repE0EEENS1_30default_config_static_selectorELNS0_4arch9wavefront6targetE1EEEvSP_
    .private_segment_fixed_size: 0
    .sgpr_count:     36
    .sgpr_spill_count: 0
    .symbol:         _ZN7rocprim17ROCPRIM_400000_NS6detail17trampoline_kernelINS0_14default_configENS1_22reduce_config_selectorIfEEZNS1_11reduce_implILb1ES3_N6thrust23THRUST_200600_302600_NS11hip_rocprim35transform_pair_of_input_iterators_tIfNS8_6detail15normal_iteratorINS8_10device_ptrIfEEEESF_8abs_diffIfEEEPffNS8_7maximumIfEEEE10hipError_tPvRmT1_T2_T3_mT4_P12ihipStream_tbEUlT_E0_NS1_11comp_targetILNS1_3genE4ELNS1_11target_archE910ELNS1_3gpuE8ELNS1_3repE0EEENS1_30default_config_static_selectorELNS0_4arch9wavefront6targetE1EEEvSP_.kd
    .uniform_work_group_size: 1
    .uses_dynamic_stack: false
    .vgpr_count:     22
    .vgpr_spill_count: 0
    .wavefront_size: 64
  - .agpr_count:     0
    .args:
      - .offset:         0
        .size:           72
        .value_kind:     by_value
    .group_segment_fixed_size: 0
    .kernarg_segment_align: 8
    .kernarg_segment_size: 72
    .language:       OpenCL C
    .language_version:
      - 2
      - 0
    .max_flat_workgroup_size: 256
    .name:           _ZN7rocprim17ROCPRIM_400000_NS6detail17trampoline_kernelINS0_14default_configENS1_22reduce_config_selectorIfEEZNS1_11reduce_implILb1ES3_N6thrust23THRUST_200600_302600_NS11hip_rocprim35transform_pair_of_input_iterators_tIfNS8_6detail15normal_iteratorINS8_10device_ptrIfEEEESF_8abs_diffIfEEEPffNS8_7maximumIfEEEE10hipError_tPvRmT1_T2_T3_mT4_P12ihipStream_tbEUlT_E0_NS1_11comp_targetILNS1_3genE3ELNS1_11target_archE908ELNS1_3gpuE7ELNS1_3repE0EEENS1_30default_config_static_selectorELNS0_4arch9wavefront6targetE1EEEvSP_
    .private_segment_fixed_size: 0
    .sgpr_count:     4
    .sgpr_spill_count: 0
    .symbol:         _ZN7rocprim17ROCPRIM_400000_NS6detail17trampoline_kernelINS0_14default_configENS1_22reduce_config_selectorIfEEZNS1_11reduce_implILb1ES3_N6thrust23THRUST_200600_302600_NS11hip_rocprim35transform_pair_of_input_iterators_tIfNS8_6detail15normal_iteratorINS8_10device_ptrIfEEEESF_8abs_diffIfEEEPffNS8_7maximumIfEEEE10hipError_tPvRmT1_T2_T3_mT4_P12ihipStream_tbEUlT_E0_NS1_11comp_targetILNS1_3genE3ELNS1_11target_archE908ELNS1_3gpuE7ELNS1_3repE0EEENS1_30default_config_static_selectorELNS0_4arch9wavefront6targetE1EEEvSP_.kd
    .uniform_work_group_size: 1
    .uses_dynamic_stack: false
    .vgpr_count:     0
    .vgpr_spill_count: 0
    .wavefront_size: 64
  - .agpr_count:     0
    .args:
      - .offset:         0
        .size:           72
        .value_kind:     by_value
    .group_segment_fixed_size: 0
    .kernarg_segment_align: 8
    .kernarg_segment_size: 72
    .language:       OpenCL C
    .language_version:
      - 2
      - 0
    .max_flat_workgroup_size: 256
    .name:           _ZN7rocprim17ROCPRIM_400000_NS6detail17trampoline_kernelINS0_14default_configENS1_22reduce_config_selectorIfEEZNS1_11reduce_implILb1ES3_N6thrust23THRUST_200600_302600_NS11hip_rocprim35transform_pair_of_input_iterators_tIfNS8_6detail15normal_iteratorINS8_10device_ptrIfEEEESF_8abs_diffIfEEEPffNS8_7maximumIfEEEE10hipError_tPvRmT1_T2_T3_mT4_P12ihipStream_tbEUlT_E0_NS1_11comp_targetILNS1_3genE2ELNS1_11target_archE906ELNS1_3gpuE6ELNS1_3repE0EEENS1_30default_config_static_selectorELNS0_4arch9wavefront6targetE1EEEvSP_
    .private_segment_fixed_size: 0
    .sgpr_count:     4
    .sgpr_spill_count: 0
    .symbol:         _ZN7rocprim17ROCPRIM_400000_NS6detail17trampoline_kernelINS0_14default_configENS1_22reduce_config_selectorIfEEZNS1_11reduce_implILb1ES3_N6thrust23THRUST_200600_302600_NS11hip_rocprim35transform_pair_of_input_iterators_tIfNS8_6detail15normal_iteratorINS8_10device_ptrIfEEEESF_8abs_diffIfEEEPffNS8_7maximumIfEEEE10hipError_tPvRmT1_T2_T3_mT4_P12ihipStream_tbEUlT_E0_NS1_11comp_targetILNS1_3genE2ELNS1_11target_archE906ELNS1_3gpuE6ELNS1_3repE0EEENS1_30default_config_static_selectorELNS0_4arch9wavefront6targetE1EEEvSP_.kd
    .uniform_work_group_size: 1
    .uses_dynamic_stack: false
    .vgpr_count:     0
    .vgpr_spill_count: 0
    .wavefront_size: 64
  - .agpr_count:     0
    .args:
      - .offset:         0
        .size:           72
        .value_kind:     by_value
    .group_segment_fixed_size: 0
    .kernarg_segment_align: 8
    .kernarg_segment_size: 72
    .language:       OpenCL C
    .language_version:
      - 2
      - 0
    .max_flat_workgroup_size: 256
    .name:           _ZN7rocprim17ROCPRIM_400000_NS6detail17trampoline_kernelINS0_14default_configENS1_22reduce_config_selectorIfEEZNS1_11reduce_implILb1ES3_N6thrust23THRUST_200600_302600_NS11hip_rocprim35transform_pair_of_input_iterators_tIfNS8_6detail15normal_iteratorINS8_10device_ptrIfEEEESF_8abs_diffIfEEEPffNS8_7maximumIfEEEE10hipError_tPvRmT1_T2_T3_mT4_P12ihipStream_tbEUlT_E0_NS1_11comp_targetILNS1_3genE10ELNS1_11target_archE1201ELNS1_3gpuE5ELNS1_3repE0EEENS1_30default_config_static_selectorELNS0_4arch9wavefront6targetE1EEEvSP_
    .private_segment_fixed_size: 0
    .sgpr_count:     4
    .sgpr_spill_count: 0
    .symbol:         _ZN7rocprim17ROCPRIM_400000_NS6detail17trampoline_kernelINS0_14default_configENS1_22reduce_config_selectorIfEEZNS1_11reduce_implILb1ES3_N6thrust23THRUST_200600_302600_NS11hip_rocprim35transform_pair_of_input_iterators_tIfNS8_6detail15normal_iteratorINS8_10device_ptrIfEEEESF_8abs_diffIfEEEPffNS8_7maximumIfEEEE10hipError_tPvRmT1_T2_T3_mT4_P12ihipStream_tbEUlT_E0_NS1_11comp_targetILNS1_3genE10ELNS1_11target_archE1201ELNS1_3gpuE5ELNS1_3repE0EEENS1_30default_config_static_selectorELNS0_4arch9wavefront6targetE1EEEvSP_.kd
    .uniform_work_group_size: 1
    .uses_dynamic_stack: false
    .vgpr_count:     0
    .vgpr_spill_count: 0
    .wavefront_size: 64
  - .agpr_count:     0
    .args:
      - .offset:         0
        .size:           72
        .value_kind:     by_value
    .group_segment_fixed_size: 0
    .kernarg_segment_align: 8
    .kernarg_segment_size: 72
    .language:       OpenCL C
    .language_version:
      - 2
      - 0
    .max_flat_workgroup_size: 256
    .name:           _ZN7rocprim17ROCPRIM_400000_NS6detail17trampoline_kernelINS0_14default_configENS1_22reduce_config_selectorIfEEZNS1_11reduce_implILb1ES3_N6thrust23THRUST_200600_302600_NS11hip_rocprim35transform_pair_of_input_iterators_tIfNS8_6detail15normal_iteratorINS8_10device_ptrIfEEEESF_8abs_diffIfEEEPffNS8_7maximumIfEEEE10hipError_tPvRmT1_T2_T3_mT4_P12ihipStream_tbEUlT_E0_NS1_11comp_targetILNS1_3genE10ELNS1_11target_archE1200ELNS1_3gpuE4ELNS1_3repE0EEENS1_30default_config_static_selectorELNS0_4arch9wavefront6targetE1EEEvSP_
    .private_segment_fixed_size: 0
    .sgpr_count:     4
    .sgpr_spill_count: 0
    .symbol:         _ZN7rocprim17ROCPRIM_400000_NS6detail17trampoline_kernelINS0_14default_configENS1_22reduce_config_selectorIfEEZNS1_11reduce_implILb1ES3_N6thrust23THRUST_200600_302600_NS11hip_rocprim35transform_pair_of_input_iterators_tIfNS8_6detail15normal_iteratorINS8_10device_ptrIfEEEESF_8abs_diffIfEEEPffNS8_7maximumIfEEEE10hipError_tPvRmT1_T2_T3_mT4_P12ihipStream_tbEUlT_E0_NS1_11comp_targetILNS1_3genE10ELNS1_11target_archE1200ELNS1_3gpuE4ELNS1_3repE0EEENS1_30default_config_static_selectorELNS0_4arch9wavefront6targetE1EEEvSP_.kd
    .uniform_work_group_size: 1
    .uses_dynamic_stack: false
    .vgpr_count:     0
    .vgpr_spill_count: 0
    .wavefront_size: 64
  - .agpr_count:     0
    .args:
      - .offset:         0
        .size:           72
        .value_kind:     by_value
    .group_segment_fixed_size: 0
    .kernarg_segment_align: 8
    .kernarg_segment_size: 72
    .language:       OpenCL C
    .language_version:
      - 2
      - 0
    .max_flat_workgroup_size: 256
    .name:           _ZN7rocprim17ROCPRIM_400000_NS6detail17trampoline_kernelINS0_14default_configENS1_22reduce_config_selectorIfEEZNS1_11reduce_implILb1ES3_N6thrust23THRUST_200600_302600_NS11hip_rocprim35transform_pair_of_input_iterators_tIfNS8_6detail15normal_iteratorINS8_10device_ptrIfEEEESF_8abs_diffIfEEEPffNS8_7maximumIfEEEE10hipError_tPvRmT1_T2_T3_mT4_P12ihipStream_tbEUlT_E0_NS1_11comp_targetILNS1_3genE9ELNS1_11target_archE1100ELNS1_3gpuE3ELNS1_3repE0EEENS1_30default_config_static_selectorELNS0_4arch9wavefront6targetE1EEEvSP_
    .private_segment_fixed_size: 0
    .sgpr_count:     4
    .sgpr_spill_count: 0
    .symbol:         _ZN7rocprim17ROCPRIM_400000_NS6detail17trampoline_kernelINS0_14default_configENS1_22reduce_config_selectorIfEEZNS1_11reduce_implILb1ES3_N6thrust23THRUST_200600_302600_NS11hip_rocprim35transform_pair_of_input_iterators_tIfNS8_6detail15normal_iteratorINS8_10device_ptrIfEEEESF_8abs_diffIfEEEPffNS8_7maximumIfEEEE10hipError_tPvRmT1_T2_T3_mT4_P12ihipStream_tbEUlT_E0_NS1_11comp_targetILNS1_3genE9ELNS1_11target_archE1100ELNS1_3gpuE3ELNS1_3repE0EEENS1_30default_config_static_selectorELNS0_4arch9wavefront6targetE1EEEvSP_.kd
    .uniform_work_group_size: 1
    .uses_dynamic_stack: false
    .vgpr_count:     0
    .vgpr_spill_count: 0
    .wavefront_size: 64
  - .agpr_count:     0
    .args:
      - .offset:         0
        .size:           72
        .value_kind:     by_value
    .group_segment_fixed_size: 0
    .kernarg_segment_align: 8
    .kernarg_segment_size: 72
    .language:       OpenCL C
    .language_version:
      - 2
      - 0
    .max_flat_workgroup_size: 256
    .name:           _ZN7rocprim17ROCPRIM_400000_NS6detail17trampoline_kernelINS0_14default_configENS1_22reduce_config_selectorIfEEZNS1_11reduce_implILb1ES3_N6thrust23THRUST_200600_302600_NS11hip_rocprim35transform_pair_of_input_iterators_tIfNS8_6detail15normal_iteratorINS8_10device_ptrIfEEEESF_8abs_diffIfEEEPffNS8_7maximumIfEEEE10hipError_tPvRmT1_T2_T3_mT4_P12ihipStream_tbEUlT_E0_NS1_11comp_targetILNS1_3genE8ELNS1_11target_archE1030ELNS1_3gpuE2ELNS1_3repE0EEENS1_30default_config_static_selectorELNS0_4arch9wavefront6targetE1EEEvSP_
    .private_segment_fixed_size: 0
    .sgpr_count:     4
    .sgpr_spill_count: 0
    .symbol:         _ZN7rocprim17ROCPRIM_400000_NS6detail17trampoline_kernelINS0_14default_configENS1_22reduce_config_selectorIfEEZNS1_11reduce_implILb1ES3_N6thrust23THRUST_200600_302600_NS11hip_rocprim35transform_pair_of_input_iterators_tIfNS8_6detail15normal_iteratorINS8_10device_ptrIfEEEESF_8abs_diffIfEEEPffNS8_7maximumIfEEEE10hipError_tPvRmT1_T2_T3_mT4_P12ihipStream_tbEUlT_E0_NS1_11comp_targetILNS1_3genE8ELNS1_11target_archE1030ELNS1_3gpuE2ELNS1_3repE0EEENS1_30default_config_static_selectorELNS0_4arch9wavefront6targetE1EEEvSP_.kd
    .uniform_work_group_size: 1
    .uses_dynamic_stack: false
    .vgpr_count:     0
    .vgpr_spill_count: 0
    .wavefront_size: 64
  - .agpr_count:     0
    .args:
      - .offset:         0
        .size:           56
        .value_kind:     by_value
    .group_segment_fixed_size: 0
    .kernarg_segment_align: 8
    .kernarg_segment_size: 56
    .language:       OpenCL C
    .language_version:
      - 2
      - 0
    .max_flat_workgroup_size: 256
    .name:           _ZN7rocprim17ROCPRIM_400000_NS6detail17trampoline_kernelINS0_14default_configENS1_22reduce_config_selectorIfEEZNS1_11reduce_implILb1ES3_N6thrust23THRUST_200600_302600_NS11hip_rocprim35transform_pair_of_input_iterators_tIfNS8_6detail15normal_iteratorINS8_10device_ptrIfEEEESF_8abs_diffIfEEEPffNS8_7maximumIfEEEE10hipError_tPvRmT1_T2_T3_mT4_P12ihipStream_tbEUlT_E1_NS1_11comp_targetILNS1_3genE0ELNS1_11target_archE4294967295ELNS1_3gpuE0ELNS1_3repE0EEENS1_30default_config_static_selectorELNS0_4arch9wavefront6targetE1EEEvSP_
    .private_segment_fixed_size: 0
    .sgpr_count:     4
    .sgpr_spill_count: 0
    .symbol:         _ZN7rocprim17ROCPRIM_400000_NS6detail17trampoline_kernelINS0_14default_configENS1_22reduce_config_selectorIfEEZNS1_11reduce_implILb1ES3_N6thrust23THRUST_200600_302600_NS11hip_rocprim35transform_pair_of_input_iterators_tIfNS8_6detail15normal_iteratorINS8_10device_ptrIfEEEESF_8abs_diffIfEEEPffNS8_7maximumIfEEEE10hipError_tPvRmT1_T2_T3_mT4_P12ihipStream_tbEUlT_E1_NS1_11comp_targetILNS1_3genE0ELNS1_11target_archE4294967295ELNS1_3gpuE0ELNS1_3repE0EEENS1_30default_config_static_selectorELNS0_4arch9wavefront6targetE1EEEvSP_.kd
    .uniform_work_group_size: 1
    .uses_dynamic_stack: false
    .vgpr_count:     0
    .vgpr_spill_count: 0
    .wavefront_size: 64
  - .agpr_count:     0
    .args:
      - .offset:         0
        .size:           56
        .value_kind:     by_value
    .group_segment_fixed_size: 0
    .kernarg_segment_align: 8
    .kernarg_segment_size: 56
    .language:       OpenCL C
    .language_version:
      - 2
      - 0
    .max_flat_workgroup_size: 128
    .name:           _ZN7rocprim17ROCPRIM_400000_NS6detail17trampoline_kernelINS0_14default_configENS1_22reduce_config_selectorIfEEZNS1_11reduce_implILb1ES3_N6thrust23THRUST_200600_302600_NS11hip_rocprim35transform_pair_of_input_iterators_tIfNS8_6detail15normal_iteratorINS8_10device_ptrIfEEEESF_8abs_diffIfEEEPffNS8_7maximumIfEEEE10hipError_tPvRmT1_T2_T3_mT4_P12ihipStream_tbEUlT_E1_NS1_11comp_targetILNS1_3genE5ELNS1_11target_archE942ELNS1_3gpuE9ELNS1_3repE0EEENS1_30default_config_static_selectorELNS0_4arch9wavefront6targetE1EEEvSP_
    .private_segment_fixed_size: 0
    .sgpr_count:     4
    .sgpr_spill_count: 0
    .symbol:         _ZN7rocprim17ROCPRIM_400000_NS6detail17trampoline_kernelINS0_14default_configENS1_22reduce_config_selectorIfEEZNS1_11reduce_implILb1ES3_N6thrust23THRUST_200600_302600_NS11hip_rocprim35transform_pair_of_input_iterators_tIfNS8_6detail15normal_iteratorINS8_10device_ptrIfEEEESF_8abs_diffIfEEEPffNS8_7maximumIfEEEE10hipError_tPvRmT1_T2_T3_mT4_P12ihipStream_tbEUlT_E1_NS1_11comp_targetILNS1_3genE5ELNS1_11target_archE942ELNS1_3gpuE9ELNS1_3repE0EEENS1_30default_config_static_selectorELNS0_4arch9wavefront6targetE1EEEvSP_.kd
    .uniform_work_group_size: 1
    .uses_dynamic_stack: false
    .vgpr_count:     0
    .vgpr_spill_count: 0
    .wavefront_size: 64
  - .agpr_count:     0
    .args:
      - .offset:         0
        .size:           56
        .value_kind:     by_value
    .group_segment_fixed_size: 56
    .kernarg_segment_align: 8
    .kernarg_segment_size: 56
    .language:       OpenCL C
    .language_version:
      - 2
      - 0
    .max_flat_workgroup_size: 128
    .name:           _ZN7rocprim17ROCPRIM_400000_NS6detail17trampoline_kernelINS0_14default_configENS1_22reduce_config_selectorIfEEZNS1_11reduce_implILb1ES3_N6thrust23THRUST_200600_302600_NS11hip_rocprim35transform_pair_of_input_iterators_tIfNS8_6detail15normal_iteratorINS8_10device_ptrIfEEEESF_8abs_diffIfEEEPffNS8_7maximumIfEEEE10hipError_tPvRmT1_T2_T3_mT4_P12ihipStream_tbEUlT_E1_NS1_11comp_targetILNS1_3genE4ELNS1_11target_archE910ELNS1_3gpuE8ELNS1_3repE0EEENS1_30default_config_static_selectorELNS0_4arch9wavefront6targetE1EEEvSP_
    .private_segment_fixed_size: 0
    .sgpr_count:     87
    .sgpr_spill_count: 0
    .symbol:         _ZN7rocprim17ROCPRIM_400000_NS6detail17trampoline_kernelINS0_14default_configENS1_22reduce_config_selectorIfEEZNS1_11reduce_implILb1ES3_N6thrust23THRUST_200600_302600_NS11hip_rocprim35transform_pair_of_input_iterators_tIfNS8_6detail15normal_iteratorINS8_10device_ptrIfEEEESF_8abs_diffIfEEEPffNS8_7maximumIfEEEE10hipError_tPvRmT1_T2_T3_mT4_P12ihipStream_tbEUlT_E1_NS1_11comp_targetILNS1_3genE4ELNS1_11target_archE910ELNS1_3gpuE8ELNS1_3repE0EEENS1_30default_config_static_selectorELNS0_4arch9wavefront6targetE1EEEvSP_.kd
    .uniform_work_group_size: 1
    .uses_dynamic_stack: false
    .vgpr_count:     38
    .vgpr_spill_count: 0
    .wavefront_size: 64
  - .agpr_count:     0
    .args:
      - .offset:         0
        .size:           56
        .value_kind:     by_value
    .group_segment_fixed_size: 0
    .kernarg_segment_align: 8
    .kernarg_segment_size: 56
    .language:       OpenCL C
    .language_version:
      - 2
      - 0
    .max_flat_workgroup_size: 256
    .name:           _ZN7rocprim17ROCPRIM_400000_NS6detail17trampoline_kernelINS0_14default_configENS1_22reduce_config_selectorIfEEZNS1_11reduce_implILb1ES3_N6thrust23THRUST_200600_302600_NS11hip_rocprim35transform_pair_of_input_iterators_tIfNS8_6detail15normal_iteratorINS8_10device_ptrIfEEEESF_8abs_diffIfEEEPffNS8_7maximumIfEEEE10hipError_tPvRmT1_T2_T3_mT4_P12ihipStream_tbEUlT_E1_NS1_11comp_targetILNS1_3genE3ELNS1_11target_archE908ELNS1_3gpuE7ELNS1_3repE0EEENS1_30default_config_static_selectorELNS0_4arch9wavefront6targetE1EEEvSP_
    .private_segment_fixed_size: 0
    .sgpr_count:     4
    .sgpr_spill_count: 0
    .symbol:         _ZN7rocprim17ROCPRIM_400000_NS6detail17trampoline_kernelINS0_14default_configENS1_22reduce_config_selectorIfEEZNS1_11reduce_implILb1ES3_N6thrust23THRUST_200600_302600_NS11hip_rocprim35transform_pair_of_input_iterators_tIfNS8_6detail15normal_iteratorINS8_10device_ptrIfEEEESF_8abs_diffIfEEEPffNS8_7maximumIfEEEE10hipError_tPvRmT1_T2_T3_mT4_P12ihipStream_tbEUlT_E1_NS1_11comp_targetILNS1_3genE3ELNS1_11target_archE908ELNS1_3gpuE7ELNS1_3repE0EEENS1_30default_config_static_selectorELNS0_4arch9wavefront6targetE1EEEvSP_.kd
    .uniform_work_group_size: 1
    .uses_dynamic_stack: false
    .vgpr_count:     0
    .vgpr_spill_count: 0
    .wavefront_size: 64
  - .agpr_count:     0
    .args:
      - .offset:         0
        .size:           56
        .value_kind:     by_value
    .group_segment_fixed_size: 0
    .kernarg_segment_align: 8
    .kernarg_segment_size: 56
    .language:       OpenCL C
    .language_version:
      - 2
      - 0
    .max_flat_workgroup_size: 256
    .name:           _ZN7rocprim17ROCPRIM_400000_NS6detail17trampoline_kernelINS0_14default_configENS1_22reduce_config_selectorIfEEZNS1_11reduce_implILb1ES3_N6thrust23THRUST_200600_302600_NS11hip_rocprim35transform_pair_of_input_iterators_tIfNS8_6detail15normal_iteratorINS8_10device_ptrIfEEEESF_8abs_diffIfEEEPffNS8_7maximumIfEEEE10hipError_tPvRmT1_T2_T3_mT4_P12ihipStream_tbEUlT_E1_NS1_11comp_targetILNS1_3genE2ELNS1_11target_archE906ELNS1_3gpuE6ELNS1_3repE0EEENS1_30default_config_static_selectorELNS0_4arch9wavefront6targetE1EEEvSP_
    .private_segment_fixed_size: 0
    .sgpr_count:     4
    .sgpr_spill_count: 0
    .symbol:         _ZN7rocprim17ROCPRIM_400000_NS6detail17trampoline_kernelINS0_14default_configENS1_22reduce_config_selectorIfEEZNS1_11reduce_implILb1ES3_N6thrust23THRUST_200600_302600_NS11hip_rocprim35transform_pair_of_input_iterators_tIfNS8_6detail15normal_iteratorINS8_10device_ptrIfEEEESF_8abs_diffIfEEEPffNS8_7maximumIfEEEE10hipError_tPvRmT1_T2_T3_mT4_P12ihipStream_tbEUlT_E1_NS1_11comp_targetILNS1_3genE2ELNS1_11target_archE906ELNS1_3gpuE6ELNS1_3repE0EEENS1_30default_config_static_selectorELNS0_4arch9wavefront6targetE1EEEvSP_.kd
    .uniform_work_group_size: 1
    .uses_dynamic_stack: false
    .vgpr_count:     0
    .vgpr_spill_count: 0
    .wavefront_size: 64
  - .agpr_count:     0
    .args:
      - .offset:         0
        .size:           56
        .value_kind:     by_value
    .group_segment_fixed_size: 0
    .kernarg_segment_align: 8
    .kernarg_segment_size: 56
    .language:       OpenCL C
    .language_version:
      - 2
      - 0
    .max_flat_workgroup_size: 256
    .name:           _ZN7rocprim17ROCPRIM_400000_NS6detail17trampoline_kernelINS0_14default_configENS1_22reduce_config_selectorIfEEZNS1_11reduce_implILb1ES3_N6thrust23THRUST_200600_302600_NS11hip_rocprim35transform_pair_of_input_iterators_tIfNS8_6detail15normal_iteratorINS8_10device_ptrIfEEEESF_8abs_diffIfEEEPffNS8_7maximumIfEEEE10hipError_tPvRmT1_T2_T3_mT4_P12ihipStream_tbEUlT_E1_NS1_11comp_targetILNS1_3genE10ELNS1_11target_archE1201ELNS1_3gpuE5ELNS1_3repE0EEENS1_30default_config_static_selectorELNS0_4arch9wavefront6targetE1EEEvSP_
    .private_segment_fixed_size: 0
    .sgpr_count:     4
    .sgpr_spill_count: 0
    .symbol:         _ZN7rocprim17ROCPRIM_400000_NS6detail17trampoline_kernelINS0_14default_configENS1_22reduce_config_selectorIfEEZNS1_11reduce_implILb1ES3_N6thrust23THRUST_200600_302600_NS11hip_rocprim35transform_pair_of_input_iterators_tIfNS8_6detail15normal_iteratorINS8_10device_ptrIfEEEESF_8abs_diffIfEEEPffNS8_7maximumIfEEEE10hipError_tPvRmT1_T2_T3_mT4_P12ihipStream_tbEUlT_E1_NS1_11comp_targetILNS1_3genE10ELNS1_11target_archE1201ELNS1_3gpuE5ELNS1_3repE0EEENS1_30default_config_static_selectorELNS0_4arch9wavefront6targetE1EEEvSP_.kd
    .uniform_work_group_size: 1
    .uses_dynamic_stack: false
    .vgpr_count:     0
    .vgpr_spill_count: 0
    .wavefront_size: 64
  - .agpr_count:     0
    .args:
      - .offset:         0
        .size:           56
        .value_kind:     by_value
    .group_segment_fixed_size: 0
    .kernarg_segment_align: 8
    .kernarg_segment_size: 56
    .language:       OpenCL C
    .language_version:
      - 2
      - 0
    .max_flat_workgroup_size: 256
    .name:           _ZN7rocprim17ROCPRIM_400000_NS6detail17trampoline_kernelINS0_14default_configENS1_22reduce_config_selectorIfEEZNS1_11reduce_implILb1ES3_N6thrust23THRUST_200600_302600_NS11hip_rocprim35transform_pair_of_input_iterators_tIfNS8_6detail15normal_iteratorINS8_10device_ptrIfEEEESF_8abs_diffIfEEEPffNS8_7maximumIfEEEE10hipError_tPvRmT1_T2_T3_mT4_P12ihipStream_tbEUlT_E1_NS1_11comp_targetILNS1_3genE10ELNS1_11target_archE1200ELNS1_3gpuE4ELNS1_3repE0EEENS1_30default_config_static_selectorELNS0_4arch9wavefront6targetE1EEEvSP_
    .private_segment_fixed_size: 0
    .sgpr_count:     4
    .sgpr_spill_count: 0
    .symbol:         _ZN7rocprim17ROCPRIM_400000_NS6detail17trampoline_kernelINS0_14default_configENS1_22reduce_config_selectorIfEEZNS1_11reduce_implILb1ES3_N6thrust23THRUST_200600_302600_NS11hip_rocprim35transform_pair_of_input_iterators_tIfNS8_6detail15normal_iteratorINS8_10device_ptrIfEEEESF_8abs_diffIfEEEPffNS8_7maximumIfEEEE10hipError_tPvRmT1_T2_T3_mT4_P12ihipStream_tbEUlT_E1_NS1_11comp_targetILNS1_3genE10ELNS1_11target_archE1200ELNS1_3gpuE4ELNS1_3repE0EEENS1_30default_config_static_selectorELNS0_4arch9wavefront6targetE1EEEvSP_.kd
    .uniform_work_group_size: 1
    .uses_dynamic_stack: false
    .vgpr_count:     0
    .vgpr_spill_count: 0
    .wavefront_size: 64
  - .agpr_count:     0
    .args:
      - .offset:         0
        .size:           56
        .value_kind:     by_value
    .group_segment_fixed_size: 0
    .kernarg_segment_align: 8
    .kernarg_segment_size: 56
    .language:       OpenCL C
    .language_version:
      - 2
      - 0
    .max_flat_workgroup_size: 256
    .name:           _ZN7rocprim17ROCPRIM_400000_NS6detail17trampoline_kernelINS0_14default_configENS1_22reduce_config_selectorIfEEZNS1_11reduce_implILb1ES3_N6thrust23THRUST_200600_302600_NS11hip_rocprim35transform_pair_of_input_iterators_tIfNS8_6detail15normal_iteratorINS8_10device_ptrIfEEEESF_8abs_diffIfEEEPffNS8_7maximumIfEEEE10hipError_tPvRmT1_T2_T3_mT4_P12ihipStream_tbEUlT_E1_NS1_11comp_targetILNS1_3genE9ELNS1_11target_archE1100ELNS1_3gpuE3ELNS1_3repE0EEENS1_30default_config_static_selectorELNS0_4arch9wavefront6targetE1EEEvSP_
    .private_segment_fixed_size: 0
    .sgpr_count:     4
    .sgpr_spill_count: 0
    .symbol:         _ZN7rocprim17ROCPRIM_400000_NS6detail17trampoline_kernelINS0_14default_configENS1_22reduce_config_selectorIfEEZNS1_11reduce_implILb1ES3_N6thrust23THRUST_200600_302600_NS11hip_rocprim35transform_pair_of_input_iterators_tIfNS8_6detail15normal_iteratorINS8_10device_ptrIfEEEESF_8abs_diffIfEEEPffNS8_7maximumIfEEEE10hipError_tPvRmT1_T2_T3_mT4_P12ihipStream_tbEUlT_E1_NS1_11comp_targetILNS1_3genE9ELNS1_11target_archE1100ELNS1_3gpuE3ELNS1_3repE0EEENS1_30default_config_static_selectorELNS0_4arch9wavefront6targetE1EEEvSP_.kd
    .uniform_work_group_size: 1
    .uses_dynamic_stack: false
    .vgpr_count:     0
    .vgpr_spill_count: 0
    .wavefront_size: 64
  - .agpr_count:     0
    .args:
      - .offset:         0
        .size:           56
        .value_kind:     by_value
    .group_segment_fixed_size: 0
    .kernarg_segment_align: 8
    .kernarg_segment_size: 56
    .language:       OpenCL C
    .language_version:
      - 2
      - 0
    .max_flat_workgroup_size: 256
    .name:           _ZN7rocprim17ROCPRIM_400000_NS6detail17trampoline_kernelINS0_14default_configENS1_22reduce_config_selectorIfEEZNS1_11reduce_implILb1ES3_N6thrust23THRUST_200600_302600_NS11hip_rocprim35transform_pair_of_input_iterators_tIfNS8_6detail15normal_iteratorINS8_10device_ptrIfEEEESF_8abs_diffIfEEEPffNS8_7maximumIfEEEE10hipError_tPvRmT1_T2_T3_mT4_P12ihipStream_tbEUlT_E1_NS1_11comp_targetILNS1_3genE8ELNS1_11target_archE1030ELNS1_3gpuE2ELNS1_3repE0EEENS1_30default_config_static_selectorELNS0_4arch9wavefront6targetE1EEEvSP_
    .private_segment_fixed_size: 0
    .sgpr_count:     4
    .sgpr_spill_count: 0
    .symbol:         _ZN7rocprim17ROCPRIM_400000_NS6detail17trampoline_kernelINS0_14default_configENS1_22reduce_config_selectorIfEEZNS1_11reduce_implILb1ES3_N6thrust23THRUST_200600_302600_NS11hip_rocprim35transform_pair_of_input_iterators_tIfNS8_6detail15normal_iteratorINS8_10device_ptrIfEEEESF_8abs_diffIfEEEPffNS8_7maximumIfEEEE10hipError_tPvRmT1_T2_T3_mT4_P12ihipStream_tbEUlT_E1_NS1_11comp_targetILNS1_3genE8ELNS1_11target_archE1030ELNS1_3gpuE2ELNS1_3repE0EEENS1_30default_config_static_selectorELNS0_4arch9wavefront6targetE1EEEvSP_.kd
    .uniform_work_group_size: 1
    .uses_dynamic_stack: false
    .vgpr_count:     0
    .vgpr_spill_count: 0
    .wavefront_size: 64
amdhsa.target:   amdgcn-amd-amdhsa--gfx90a
amdhsa.version:
  - 1
  - 2
...

	.end_amdgpu_metadata
